;; amdgpu-corpus repo=ROCm/rocFFT kind=compiled arch=gfx1201 opt=O3
	.text
	.amdgcn_target "amdgcn-amd-amdhsa--gfx1201"
	.amdhsa_code_object_version 6
	.protected	fft_rtc_back_len1734_factors_17_17_6_wgs_102_tpt_102_halfLds_sp_op_CI_CI_unitstride_sbrr_dirReg ; -- Begin function fft_rtc_back_len1734_factors_17_17_6_wgs_102_tpt_102_halfLds_sp_op_CI_CI_unitstride_sbrr_dirReg
	.globl	fft_rtc_back_len1734_factors_17_17_6_wgs_102_tpt_102_halfLds_sp_op_CI_CI_unitstride_sbrr_dirReg
	.p2align	8
	.type	fft_rtc_back_len1734_factors_17_17_6_wgs_102_tpt_102_halfLds_sp_op_CI_CI_unitstride_sbrr_dirReg,@function
fft_rtc_back_len1734_factors_17_17_6_wgs_102_tpt_102_halfLds_sp_op_CI_CI_unitstride_sbrr_dirReg: ; @fft_rtc_back_len1734_factors_17_17_6_wgs_102_tpt_102_halfLds_sp_op_CI_CI_unitstride_sbrr_dirReg
; %bb.0:
	s_clause 0x2
	s_load_b128 s[4:7], s[0:1], 0x0
	s_load_b128 s[8:11], s[0:1], 0x58
	;; [unrolled: 1-line block ×3, first 2 shown]
	v_mul_u32_u24_e32 v1, 0x283, v0
	v_mov_b32_e32 v5, 0
	v_mov_b32_e32 v31, 0
	;; [unrolled: 1-line block ×3, first 2 shown]
	s_delay_alu instid0(VALU_DEP_4) | instskip(NEXT) | instid1(VALU_DEP_1)
	v_lshrrev_b32_e32 v1, 16, v1
	v_dual_mov_b32 v8, v5 :: v_dual_add_nc_u32 v7, ttmp9, v1
	s_wait_kmcnt 0x0
	v_cmp_lt_u64_e64 s2, s[6:7], 2
	s_delay_alu instid0(VALU_DEP_1)
	s_and_b32 vcc_lo, exec_lo, s2
	s_cbranch_vccnz .LBB0_8
; %bb.1:
	s_load_b64 s[2:3], s[0:1], 0x10
	v_mov_b32_e32 v31, 0
	v_mov_b32_e32 v32, 0
	s_delay_alu instid0(VALU_DEP_2)
	v_mov_b32_e32 v1, v31
	s_add_nc_u64 s[16:17], s[14:15], 8
	s_add_nc_u64 s[18:19], s[12:13], 8
	s_mov_b64 s[20:21], 1
	v_mov_b32_e32 v2, v32
	s_wait_kmcnt 0x0
	s_add_nc_u64 s[22:23], s[2:3], 8
	s_mov_b32 s3, 0
.LBB0_2:                                ; =>This Inner Loop Header: Depth=1
	s_load_b64 s[24:25], s[22:23], 0x0
                                        ; implicit-def: $vgpr3_vgpr4
	s_mov_b32 s2, exec_lo
	s_wait_kmcnt 0x0
	v_or_b32_e32 v6, s25, v8
	s_delay_alu instid0(VALU_DEP_1)
	v_cmpx_ne_u64_e32 0, v[5:6]
	s_wait_alu 0xfffe
	s_xor_b32 s26, exec_lo, s2
	s_cbranch_execz .LBB0_4
; %bb.3:                                ;   in Loop: Header=BB0_2 Depth=1
	s_cvt_f32_u32 s2, s24
	s_cvt_f32_u32 s27, s25
	s_sub_nc_u64 s[30:31], 0, s[24:25]
	s_wait_alu 0xfffe
	s_delay_alu instid0(SALU_CYCLE_1) | instskip(SKIP_1) | instid1(SALU_CYCLE_2)
	s_fmamk_f32 s2, s27, 0x4f800000, s2
	s_wait_alu 0xfffe
	v_s_rcp_f32 s2, s2
	s_delay_alu instid0(TRANS32_DEP_1) | instskip(SKIP_1) | instid1(SALU_CYCLE_2)
	s_mul_f32 s2, s2, 0x5f7ffffc
	s_wait_alu 0xfffe
	s_mul_f32 s27, s2, 0x2f800000
	s_wait_alu 0xfffe
	s_delay_alu instid0(SALU_CYCLE_2) | instskip(SKIP_1) | instid1(SALU_CYCLE_2)
	s_trunc_f32 s27, s27
	s_wait_alu 0xfffe
	s_fmamk_f32 s2, s27, 0xcf800000, s2
	s_cvt_u32_f32 s29, s27
	s_wait_alu 0xfffe
	s_delay_alu instid0(SALU_CYCLE_1) | instskip(SKIP_1) | instid1(SALU_CYCLE_2)
	s_cvt_u32_f32 s28, s2
	s_wait_alu 0xfffe
	s_mul_u64 s[34:35], s[30:31], s[28:29]
	s_wait_alu 0xfffe
	s_mul_hi_u32 s37, s28, s35
	s_mul_i32 s36, s28, s35
	s_mul_hi_u32 s2, s28, s34
	s_mul_i32 s33, s29, s34
	s_wait_alu 0xfffe
	s_add_nc_u64 s[36:37], s[2:3], s[36:37]
	s_mul_hi_u32 s27, s29, s34
	s_mul_hi_u32 s38, s29, s35
	s_add_co_u32 s2, s36, s33
	s_wait_alu 0xfffe
	s_add_co_ci_u32 s2, s37, s27
	s_mul_i32 s34, s29, s35
	s_add_co_ci_u32 s35, s38, 0
	s_wait_alu 0xfffe
	s_add_nc_u64 s[34:35], s[2:3], s[34:35]
	s_wait_alu 0xfffe
	v_add_co_u32 v3, s2, s28, s34
	s_delay_alu instid0(VALU_DEP_1) | instskip(SKIP_1) | instid1(VALU_DEP_1)
	s_cmp_lg_u32 s2, 0
	s_add_co_ci_u32 s29, s29, s35
	v_readfirstlane_b32 s28, v3
	s_wait_alu 0xfffe
	s_delay_alu instid0(VALU_DEP_1)
	s_mul_u64 s[30:31], s[30:31], s[28:29]
	s_wait_alu 0xfffe
	s_mul_hi_u32 s35, s28, s31
	s_mul_i32 s34, s28, s31
	s_mul_hi_u32 s2, s28, s30
	s_mul_i32 s33, s29, s30
	s_wait_alu 0xfffe
	s_add_nc_u64 s[34:35], s[2:3], s[34:35]
	s_mul_hi_u32 s27, s29, s30
	s_mul_hi_u32 s28, s29, s31
	s_wait_alu 0xfffe
	s_add_co_u32 s2, s34, s33
	s_add_co_ci_u32 s2, s35, s27
	s_mul_i32 s30, s29, s31
	s_add_co_ci_u32 s31, s28, 0
	s_wait_alu 0xfffe
	s_add_nc_u64 s[30:31], s[2:3], s[30:31]
	s_wait_alu 0xfffe
	v_add_co_u32 v6, s2, v3, s30
	s_delay_alu instid0(VALU_DEP_1) | instskip(SKIP_1) | instid1(VALU_DEP_1)
	s_cmp_lg_u32 s2, 0
	s_add_co_ci_u32 s2, s29, s31
	v_mul_hi_u32 v13, v7, v6
	s_wait_alu 0xfffe
	v_mad_co_u64_u32 v[3:4], null, v7, s2, 0
	v_mad_co_u64_u32 v[9:10], null, v8, v6, 0
	;; [unrolled: 1-line block ×3, first 2 shown]
	s_delay_alu instid0(VALU_DEP_3) | instskip(SKIP_1) | instid1(VALU_DEP_4)
	v_add_co_u32 v3, vcc_lo, v13, v3
	s_wait_alu 0xfffd
	v_add_co_ci_u32_e32 v4, vcc_lo, 0, v4, vcc_lo
	s_delay_alu instid0(VALU_DEP_2) | instskip(SKIP_1) | instid1(VALU_DEP_2)
	v_add_co_u32 v3, vcc_lo, v3, v9
	s_wait_alu 0xfffd
	v_add_co_ci_u32_e32 v3, vcc_lo, v4, v10, vcc_lo
	s_wait_alu 0xfffd
	v_add_co_ci_u32_e32 v4, vcc_lo, 0, v12, vcc_lo
	s_delay_alu instid0(VALU_DEP_2) | instskip(SKIP_1) | instid1(VALU_DEP_2)
	v_add_co_u32 v6, vcc_lo, v3, v11
	s_wait_alu 0xfffd
	v_add_co_ci_u32_e32 v9, vcc_lo, 0, v4, vcc_lo
	s_delay_alu instid0(VALU_DEP_2) | instskip(SKIP_1) | instid1(VALU_DEP_3)
	v_mul_lo_u32 v10, s25, v6
	v_mad_co_u64_u32 v[3:4], null, s24, v6, 0
	v_mul_lo_u32 v11, s24, v9
	s_delay_alu instid0(VALU_DEP_2) | instskip(NEXT) | instid1(VALU_DEP_2)
	v_sub_co_u32 v3, vcc_lo, v7, v3
	v_add3_u32 v4, v4, v11, v10
	s_delay_alu instid0(VALU_DEP_1) | instskip(SKIP_1) | instid1(VALU_DEP_1)
	v_sub_nc_u32_e32 v10, v8, v4
	s_wait_alu 0xfffd
	v_subrev_co_ci_u32_e64 v10, s2, s25, v10, vcc_lo
	v_add_co_u32 v11, s2, v6, 2
	s_wait_alu 0xf1ff
	v_add_co_ci_u32_e64 v12, s2, 0, v9, s2
	v_sub_co_u32 v13, s2, v3, s24
	v_sub_co_ci_u32_e32 v4, vcc_lo, v8, v4, vcc_lo
	s_wait_alu 0xf1ff
	v_subrev_co_ci_u32_e64 v10, s2, 0, v10, s2
	s_delay_alu instid0(VALU_DEP_3) | instskip(NEXT) | instid1(VALU_DEP_3)
	v_cmp_le_u32_e32 vcc_lo, s24, v13
	v_cmp_eq_u32_e64 s2, s25, v4
	s_wait_alu 0xfffd
	v_cndmask_b32_e64 v13, 0, -1, vcc_lo
	v_cmp_le_u32_e32 vcc_lo, s25, v10
	s_wait_alu 0xfffd
	v_cndmask_b32_e64 v14, 0, -1, vcc_lo
	v_cmp_le_u32_e32 vcc_lo, s24, v3
	;; [unrolled: 3-line block ×3, first 2 shown]
	s_wait_alu 0xfffd
	v_cndmask_b32_e64 v15, 0, -1, vcc_lo
	v_cmp_eq_u32_e32 vcc_lo, s25, v10
	s_wait_alu 0xf1ff
	s_delay_alu instid0(VALU_DEP_2)
	v_cndmask_b32_e64 v3, v15, v3, s2
	s_wait_alu 0xfffd
	v_cndmask_b32_e32 v10, v14, v13, vcc_lo
	v_add_co_u32 v13, vcc_lo, v6, 1
	s_wait_alu 0xfffd
	v_add_co_ci_u32_e32 v14, vcc_lo, 0, v9, vcc_lo
	s_delay_alu instid0(VALU_DEP_3) | instskip(SKIP_1) | instid1(VALU_DEP_2)
	v_cmp_ne_u32_e32 vcc_lo, 0, v10
	s_wait_alu 0xfffd
	v_cndmask_b32_e32 v4, v14, v12, vcc_lo
	v_cndmask_b32_e32 v10, v13, v11, vcc_lo
	v_cmp_ne_u32_e32 vcc_lo, 0, v3
	s_wait_alu 0xfffd
	s_delay_alu instid0(VALU_DEP_2)
	v_dual_cndmask_b32 v4, v9, v4 :: v_dual_cndmask_b32 v3, v6, v10
.LBB0_4:                                ;   in Loop: Header=BB0_2 Depth=1
	s_wait_alu 0xfffe
	s_and_not1_saveexec_b32 s2, s26
	s_cbranch_execz .LBB0_6
; %bb.5:                                ;   in Loop: Header=BB0_2 Depth=1
	v_cvt_f32_u32_e32 v3, s24
	s_sub_co_i32 s26, 0, s24
	s_delay_alu instid0(VALU_DEP_1) | instskip(NEXT) | instid1(TRANS32_DEP_1)
	v_rcp_iflag_f32_e32 v3, v3
	v_mul_f32_e32 v3, 0x4f7ffffe, v3
	s_delay_alu instid0(VALU_DEP_1) | instskip(SKIP_1) | instid1(VALU_DEP_1)
	v_cvt_u32_f32_e32 v3, v3
	s_wait_alu 0xfffe
	v_mul_lo_u32 v4, s26, v3
	s_delay_alu instid0(VALU_DEP_1) | instskip(NEXT) | instid1(VALU_DEP_1)
	v_mul_hi_u32 v4, v3, v4
	v_add_nc_u32_e32 v3, v3, v4
	s_delay_alu instid0(VALU_DEP_1) | instskip(NEXT) | instid1(VALU_DEP_1)
	v_mul_hi_u32 v3, v7, v3
	v_mul_lo_u32 v4, v3, s24
	v_add_nc_u32_e32 v6, 1, v3
	s_delay_alu instid0(VALU_DEP_2) | instskip(NEXT) | instid1(VALU_DEP_1)
	v_sub_nc_u32_e32 v4, v7, v4
	v_subrev_nc_u32_e32 v9, s24, v4
	v_cmp_le_u32_e32 vcc_lo, s24, v4
	s_wait_alu 0xfffd
	s_delay_alu instid0(VALU_DEP_2) | instskip(NEXT) | instid1(VALU_DEP_1)
	v_dual_cndmask_b32 v4, v4, v9 :: v_dual_cndmask_b32 v3, v3, v6
	v_cmp_le_u32_e32 vcc_lo, s24, v4
	v_mov_b32_e32 v4, v5
	s_delay_alu instid0(VALU_DEP_3) | instskip(SKIP_1) | instid1(VALU_DEP_1)
	v_add_nc_u32_e32 v6, 1, v3
	s_wait_alu 0xfffd
	v_cndmask_b32_e32 v3, v3, v6, vcc_lo
.LBB0_6:                                ;   in Loop: Header=BB0_2 Depth=1
	s_wait_alu 0xfffe
	s_or_b32 exec_lo, exec_lo, s2
	v_mul_lo_u32 v6, v4, s24
	s_delay_alu instid0(VALU_DEP_2)
	v_mul_lo_u32 v11, v3, s25
	s_load_b64 s[26:27], s[18:19], 0x0
	v_mad_co_u64_u32 v[9:10], null, v3, s24, 0
	s_load_b64 s[24:25], s[16:17], 0x0
	s_add_nc_u64 s[20:21], s[20:21], 1
	s_add_nc_u64 s[16:17], s[16:17], 8
	s_wait_alu 0xfffe
	v_cmp_ge_u64_e64 s2, s[20:21], s[6:7]
	s_add_nc_u64 s[18:19], s[18:19], 8
	s_add_nc_u64 s[22:23], s[22:23], 8
	v_add3_u32 v6, v10, v11, v6
	v_sub_co_u32 v7, vcc_lo, v7, v9
	s_wait_alu 0xfffd
	s_delay_alu instid0(VALU_DEP_2) | instskip(SKIP_2) | instid1(VALU_DEP_1)
	v_sub_co_ci_u32_e32 v6, vcc_lo, v8, v6, vcc_lo
	s_and_b32 vcc_lo, exec_lo, s2
	s_wait_kmcnt 0x0
	v_mul_lo_u32 v8, s26, v6
	v_mul_lo_u32 v9, s27, v7
	v_mad_co_u64_u32 v[31:32], null, s26, v7, v[31:32]
	v_mul_lo_u32 v6, s24, v6
	v_mul_lo_u32 v10, s25, v7
	v_mad_co_u64_u32 v[1:2], null, s24, v7, v[1:2]
	s_delay_alu instid0(VALU_DEP_4) | instskip(NEXT) | instid1(VALU_DEP_2)
	v_add3_u32 v32, v9, v32, v8
	v_add3_u32 v2, v10, v2, v6
	s_wait_alu 0xfffe
	s_cbranch_vccnz .LBB0_9
; %bb.7:                                ;   in Loop: Header=BB0_2 Depth=1
	v_dual_mov_b32 v8, v4 :: v_dual_mov_b32 v7, v3
	s_branch .LBB0_2
.LBB0_8:
	v_dual_mov_b32 v1, v31 :: v_dual_mov_b32 v2, v32
	v_dual_mov_b32 v3, v7 :: v_dual_mov_b32 v4, v8
.LBB0_9:
	s_load_b64 s[0:1], s[0:1], 0x28
	v_mul_hi_u32 v5, 0x2828283, v0
	s_lshl_b64 s[6:7], s[6:7], 3
                                        ; implicit-def: $sgpr2_sgpr3
                                        ; implicit-def: $vgpr40
	s_wait_kmcnt 0x0
	v_cmp_gt_u64_e32 vcc_lo, s[0:1], v[3:4]
	v_cmp_le_u64_e64 s0, s[0:1], v[3:4]
	s_delay_alu instid0(VALU_DEP_1)
	s_and_saveexec_b32 s1, s0
	s_wait_alu 0xfffe
	s_xor_b32 s0, exec_lo, s1
; %bb.10:
	v_mul_u32_u24_e32 v5, 0x66, v5
	s_mov_b64 s[2:3], 0
                                        ; implicit-def: $vgpr31_vgpr32
	s_delay_alu instid0(VALU_DEP_1)
	v_sub_nc_u32_e32 v40, v0, v5
                                        ; implicit-def: $vgpr5
                                        ; implicit-def: $vgpr0
; %bb.11:
	s_wait_alu 0xfffe
	s_or_saveexec_b32 s1, s0
	v_dual_mov_b32 v30, s3 :: v_dual_mov_b32 v29, s2
	s_add_nc_u64 s[2:3], s[14:15], s[6:7]
                                        ; implicit-def: $vgpr39
                                        ; implicit-def: $vgpr33
                                        ; implicit-def: $vgpr26
                                        ; implicit-def: $vgpr22
                                        ; implicit-def: $vgpr18
                                        ; implicit-def: $vgpr14
                                        ; implicit-def: $vgpr10
                                        ; implicit-def: $vgpr6
                                        ; implicit-def: $vgpr37
                                        ; implicit-def: $vgpr35
                                        ; implicit-def: $vgpr28
                                        ; implicit-def: $vgpr24
                                        ; implicit-def: $vgpr20
                                        ; implicit-def: $vgpr16
                                        ; implicit-def: $vgpr12
                                        ; implicit-def: $vgpr8
	s_wait_alu 0xfffe
	s_xor_b32 exec_lo, exec_lo, s1
	s_cbranch_execz .LBB0_13
; %bb.12:
	s_add_nc_u64 s[6:7], s[12:13], s[6:7]
	s_load_b64 s[6:7], s[6:7], 0x0
	s_wait_kmcnt 0x0
	v_mul_lo_u32 v8, s7, v3
	v_mul_lo_u32 v9, s6, v4
	v_mad_co_u64_u32 v[6:7], null, s6, v3, 0
	s_delay_alu instid0(VALU_DEP_1) | instskip(SKIP_1) | instid1(VALU_DEP_2)
	v_add3_u32 v7, v7, v9, v8
	v_mul_u32_u24_e32 v9, 0x66, v5
	v_lshlrev_b64_e32 v[5:6], 3, v[6:7]
	v_lshlrev_b64_e32 v[7:8], 3, v[31:32]
	s_delay_alu instid0(VALU_DEP_3) | instskip(NEXT) | instid1(VALU_DEP_3)
	v_sub_nc_u32_e32 v40, v0, v9
	v_add_co_u32 v0, s0, s8, v5
	s_wait_alu 0xf1ff
	s_delay_alu instid0(VALU_DEP_4) | instskip(NEXT) | instid1(VALU_DEP_3)
	v_add_co_ci_u32_e64 v5, s0, s9, v6, s0
	v_lshlrev_b32_e32 v6, 3, v40
	s_delay_alu instid0(VALU_DEP_3) | instskip(SKIP_1) | instid1(VALU_DEP_3)
	v_add_co_u32 v0, s0, v0, v7
	s_wait_alu 0xf1ff
	v_add_co_ci_u32_e64 v5, s0, v5, v8, s0
	s_delay_alu instid0(VALU_DEP_2) | instskip(SKIP_1) | instid1(VALU_DEP_2)
	v_add_co_u32 v36, s0, v0, v6
	s_wait_alu 0xf1ff
	v_add_co_ci_u32_e64 v37, s0, 0, v5, s0
	s_clause 0x10
	global_load_b64 v[29:30], v[36:37], off
	global_load_b64 v[38:39], v[36:37], off offset:816
	global_load_b64 v[32:33], v[36:37], off offset:1632
	global_load_b64 v[25:26], v[36:37], off offset:2448
	global_load_b64 v[21:22], v[36:37], off offset:3264
	global_load_b64 v[17:18], v[36:37], off offset:4080
	global_load_b64 v[13:14], v[36:37], off offset:4896
	global_load_b64 v[9:10], v[36:37], off offset:5712
	global_load_b64 v[5:6], v[36:37], off offset:6528
	global_load_b64 v[7:8], v[36:37], off offset:7344
	global_load_b64 v[11:12], v[36:37], off offset:8160
	global_load_b64 v[15:16], v[36:37], off offset:8976
	global_load_b64 v[19:20], v[36:37], off offset:9792
	global_load_b64 v[23:24], v[36:37], off offset:10608
	global_load_b64 v[27:28], v[36:37], off offset:11424
	global_load_b64 v[34:35], v[36:37], off offset:12240
	global_load_b64 v[36:37], v[36:37], off offset:13056
.LBB0_13:
	s_or_b32 exec_lo, exec_lo, s1
	s_wait_loadcnt 0xf
	v_dual_add_f32 v0, v38, v29 :: v_dual_add_f32 v31, v39, v30
	s_wait_loadcnt 0x0
	v_dual_add_f32 v41, v38, v36 :: v_dual_sub_f32 v42, v39, v37
	v_dual_sub_f32 v38, v38, v36 :: v_dual_add_f32 v39, v39, v37
	s_delay_alu instid0(VALU_DEP_3) | instskip(SKIP_3) | instid1(VALU_DEP_3)
	v_dual_add_f32 v0, v32, v0 :: v_dual_add_f32 v31, v33, v31
	v_add_f32_e32 v72, v32, v34
	v_sub_f32_e32 v70, v33, v35
	s_load_b64 s[2:3], s[2:3], 0x0
	v_dual_add_f32 v0, v25, v0 :: v_dual_add_f32 v31, v26, v31
	v_mul_f32_e32 v44, 0xbeb8f4ab, v38
	v_mul_f32_e32 v43, 0xbeb8f4ab, v42
	v_cmp_gt_u32_e64 s0, 0x55, v40
	s_delay_alu instid0(VALU_DEP_4) | instskip(SKIP_3) | instid1(VALU_DEP_4)
	v_dual_add_f32 v0, v21, v0 :: v_dual_add_f32 v31, v22, v31
	v_mul_f32_e32 v46, 0xbf2c7751, v38
	v_mul_f32_e32 v45, 0xbf2c7751, v42
	v_fma_f32 v53, 0x3f6eb680, v39, -v44
	v_dual_add_f32 v0, v17, v0 :: v_dual_add_f32 v31, v18, v31
	v_mul_f32_e32 v48, 0xbf65296c, v38
	v_mul_f32_e32 v47, 0xbf65296c, v42
	s_delay_alu instid0(VALU_DEP_4) | instskip(NEXT) | instid1(VALU_DEP_4)
	v_dual_fmac_f32 v44, 0x3f6eb680, v39 :: v_dual_add_f32 v53, v53, v30
	v_dual_add_f32 v31, v14, v31 :: v_dual_mul_f32 v50, 0xbf7ee86f, v38
	v_dual_add_f32 v0, v13, v0 :: v_dual_mul_f32 v49, 0xbf7ee86f, v42
	v_fma_f32 v57, 0x3ee437d1, v39, -v48
	s_delay_alu instid0(VALU_DEP_3) | instskip(NEXT) | instid1(VALU_DEP_3)
	v_dual_add_f32 v31, v10, v31 :: v_dual_fmamk_f32 v52, v41, 0x3f6eb680, v43
	v_dual_add_f32 v0, v9, v0 :: v_dual_mul_f32 v51, 0xbf763a35, v42
	v_fma_f32 v59, 0x3dbcf732, v39, -v50
	s_delay_alu instid0(VALU_DEP_3) | instskip(NEXT) | instid1(VALU_DEP_3)
	v_dual_add_f32 v31, v6, v31 :: v_dual_fmamk_f32 v54, v41, 0x3f3d2fb0, v45
	v_add_f32_e32 v0, v5, v0
	v_fma_f32 v45, 0x3f3d2fb0, v41, -v45
	v_dual_fmac_f32 v50, 0x3dbcf732, v39 :: v_dual_add_f32 v57, v57, v30
	s_delay_alu instid0(VALU_DEP_4) | instskip(SKIP_3) | instid1(VALU_DEP_4)
	v_dual_add_f32 v31, v8, v31 :: v_dual_fmamk_f32 v56, v41, 0x3ee437d1, v47
	v_fma_f32 v47, 0x3ee437d1, v41, -v47
	v_fma_f32 v43, 0x3f6eb680, v41, -v43
	;; [unrolled: 1-line block ×3, first 2 shown]
	v_dual_add_f32 v31, v12, v31 :: v_dual_add_f32 v0, v7, v0
	s_delay_alu instid0(VALU_DEP_3) | instskip(NEXT) | instid1(VALU_DEP_3)
	v_dual_fmac_f32 v46, 0x3f3d2fb0, v39 :: v_dual_add_f32 v43, v43, v29
	v_dual_fmac_f32 v48, 0x3ee437d1, v39 :: v_dual_add_f32 v55, v55, v30
	s_delay_alu instid0(VALU_DEP_3) | instskip(SKIP_2) | instid1(VALU_DEP_3)
	v_dual_add_f32 v31, v16, v31 :: v_dual_add_f32 v0, v11, v0
	v_dual_add_f32 v45, v45, v29 :: v_dual_add_f32 v44, v44, v30
	v_add_f32_e32 v47, v47, v29
	v_dual_add_f32 v31, v20, v31 :: v_dual_fmamk_f32 v58, v41, 0x3dbcf732, v49
	s_delay_alu instid0(VALU_DEP_4) | instskip(SKIP_2) | instid1(VALU_DEP_4)
	v_add_f32_e32 v0, v15, v0
	v_fma_f32 v49, 0x3dbcf732, v41, -v49
	v_sub_f32_e32 v32, v32, v34
	v_dual_add_f32 v31, v24, v31 :: v_dual_add_f32 v54, v54, v29
	v_add_f32_e32 v59, v59, v30
	v_add_f32_e32 v0, v19, v0
	v_dual_add_f32 v46, v46, v30 :: v_dual_add_f32 v49, v49, v29
	s_delay_alu instid0(VALU_DEP_4) | instskip(SKIP_3) | instid1(VALU_DEP_4)
	v_add_f32_e32 v31, v28, v31
	v_dual_add_f32 v52, v52, v29 :: v_dual_mul_f32 v63, 0xbf4c4adb, v38
	v_add_f32_e32 v50, v50, v30
	v_mul_f32_e32 v65, 0xbf06c442, v42
	v_add_f32_e32 v31, v35, v31
	v_add_f32_e32 v0, v23, v0
	v_fma_f32 v64, 0xbf1a4643, v39, -v63
	v_fmac_f32_e32 v63, 0xbf1a4643, v39
	v_fmamk_f32 v67, v41, 0xbf59a7d5, v65
	s_delay_alu instid0(VALU_DEP_4) | instskip(SKIP_1) | instid1(VALU_DEP_4)
	v_dual_add_f32 v31, v37, v31 :: v_dual_add_f32 v0, v27, v0
	v_dual_mul_f32 v37, 0xbf763a35, v38 :: v_dual_add_f32 v56, v56, v29
	v_add_f32_e32 v63, v63, v30
	s_delay_alu instid0(VALU_DEP_4) | instskip(NEXT) | instid1(VALU_DEP_4)
	v_dual_mul_f32 v60, 0xbf4c4adb, v42 :: v_dual_add_f32 v67, v67, v29
	v_add_f32_e32 v0, v34, v0
	s_delay_alu instid0(VALU_DEP_4) | instskip(SKIP_2) | instid1(VALU_DEP_4)
	v_fma_f32 v61, 0xbe8c1d8e, v39, -v37
	v_dual_fmac_f32 v37, 0xbe8c1d8e, v39 :: v_dual_add_f32 v64, v64, v30
	v_fma_f32 v65, 0xbf59a7d5, v41, -v65
	v_add_f32_e32 v0, v36, v0
	v_fmamk_f32 v36, v41, 0xbe8c1d8e, v51
	v_mul_f32_e32 v66, 0xbf06c442, v38
	v_mul_f32_e32 v38, 0xbe3c28d5, v38
	;; [unrolled: 1-line block ×3, first 2 shown]
	v_fma_f32 v51, 0xbe8c1d8e, v41, -v51
	v_add_f32_e32 v36, v36, v29
	v_add_f32_e32 v65, v65, v29
	v_fma_f32 v71, 0xbf7ba420, v39, -v38
	v_fmamk_f32 v62, v41, 0xbf1a4643, v60
	v_fma_f32 v60, 0xbf1a4643, v41, -v60
	v_fma_f32 v68, 0xbf59a7d5, v39, -v66
	v_dual_add_f32 v48, v48, v30 :: v_dual_add_f32 v51, v51, v29
	s_delay_alu instid0(VALU_DEP_3) | instskip(SKIP_2) | instid1(VALU_DEP_3)
	v_dual_fmamk_f32 v69, v41, 0xbf7ba420, v42 :: v_dual_add_f32 v60, v60, v29
	v_dual_add_f32 v58, v58, v29 :: v_dual_add_f32 v61, v61, v30
	v_mul_f32_e32 v73, 0xbf2c7751, v70
	v_add_f32_e32 v69, v69, v29
	v_fma_f32 v34, 0xbf7ba420, v41, -v42
	v_dual_fmac_f32 v66, 0xbf59a7d5, v39 :: v_dual_add_f32 v41, v71, v30
	v_add_f32_e32 v62, v62, v29
	v_dual_add_f32 v68, v68, v30 :: v_dual_add_f32 v33, v33, v35
	v_fmac_f32_e32 v38, 0xbf7ba420, v39
	v_fmamk_f32 v35, v72, 0x3f3d2fb0, v73
	v_mul_f32_e32 v39, 0xbf2c7751, v32
	v_add_f32_e32 v29, v34, v29
	v_add_f32_e32 v66, v66, v30
	s_delay_alu instid0(VALU_DEP_4) | instskip(NEXT) | instid1(VALU_DEP_4)
	v_dual_add_f32 v37, v37, v30 :: v_dual_add_f32 v34, v35, v52
	v_fma_f32 v35, 0x3f3d2fb0, v33, -v39
	v_fmac_f32_e32 v39, 0x3f3d2fb0, v33
	v_fma_f32 v42, 0x3f3d2fb0, v72, -v73
	s_delay_alu instid0(VALU_DEP_3) | instskip(NEXT) | instid1(VALU_DEP_3)
	v_dual_add_f32 v30, v38, v30 :: v_dual_add_f32 v35, v35, v53
	v_add_f32_e32 v39, v39, v44
	v_mul_f32_e32 v52, 0xbf7ee86f, v32
	s_delay_alu instid0(VALU_DEP_4) | instskip(SKIP_2) | instid1(VALU_DEP_4)
	v_add_f32_e32 v42, v42, v43
	v_mul_f32_e32 v44, 0xbf4c4adb, v70
	v_mul_f32_e32 v71, 0xbe3c28d5, v32
	v_fma_f32 v43, 0x3dbcf732, v33, -v52
	v_mul_f32_e32 v38, 0xbf7ee86f, v70
	s_delay_alu instid0(VALU_DEP_2) | instskip(NEXT) | instid1(VALU_DEP_2)
	v_dual_fmac_f32 v52, 0x3dbcf732, v33 :: v_dual_add_f32 v43, v43, v55
	v_fmamk_f32 v53, v72, 0x3dbcf732, v38
	v_fma_f32 v38, 0x3dbcf732, v72, -v38
	v_mul_f32_e32 v55, 0xbf4c4adb, v32
	s_delay_alu instid0(VALU_DEP_3) | instskip(NEXT) | instid1(VALU_DEP_3)
	v_dual_add_f32 v53, v53, v54 :: v_dual_fmamk_f32 v54, v72, 0xbf1a4643, v44
	v_dual_add_f32 v38, v38, v45 :: v_dual_add_f32 v45, v52, v46
	v_mul_f32_e32 v46, 0xbe3c28d5, v70
	v_fma_f32 v44, 0xbf1a4643, v72, -v44
	s_delay_alu instid0(VALU_DEP_4) | instskip(SKIP_4) | instid1(VALU_DEP_4)
	v_add_f32_e32 v52, v54, v56
	v_fma_f32 v54, 0xbf1a4643, v33, -v55
	v_fmac_f32_e32 v55, 0xbf1a4643, v33
	v_fmamk_f32 v56, v72, 0xbf7ba420, v46
	v_add_f32_e32 v44, v44, v47
	v_dual_add_f32 v54, v54, v57 :: v_dual_mul_f32 v57, 0x3f06c442, v32
	s_delay_alu instid0(VALU_DEP_3) | instskip(SKIP_3) | instid1(VALU_DEP_2)
	v_dual_add_f32 v47, v55, v48 :: v_dual_add_f32 v48, v56, v58
	v_fma_f32 v55, 0xbf7ba420, v33, -v71
	v_mul_f32_e32 v56, 0x3f06c442, v70
	v_fmac_f32_e32 v71, 0xbf7ba420, v33
	v_dual_add_f32 v55, v55, v59 :: v_dual_fmamk_f32 v58, v72, 0xbf59a7d5, v56
	s_delay_alu instid0(VALU_DEP_1) | instskip(NEXT) | instid1(VALU_DEP_1)
	v_dual_mul_f32 v59, 0x3f763a35, v70 :: v_dual_add_f32 v36, v58, v36
	v_fmamk_f32 v58, v72, 0xbe8c1d8e, v59
	v_fma_f32 v59, 0xbe8c1d8e, v72, -v59
	s_delay_alu instid0(VALU_DEP_1) | instskip(SKIP_1) | instid1(VALU_DEP_1)
	v_add_f32_e32 v59, v59, v60
	v_fma_f32 v56, 0xbf59a7d5, v72, -v56
	v_add_f32_e32 v51, v56, v51
	v_fma_f32 v46, 0xbf7ba420, v72, -v46
	v_mul_f32_e32 v56, 0x3f65296c, v70
	s_delay_alu instid0(VALU_DEP_2) | instskip(SKIP_2) | instid1(VALU_DEP_2)
	v_dual_add_f32 v46, v46, v49 :: v_dual_add_f32 v49, v71, v50
	v_fma_f32 v50, 0xbf59a7d5, v33, -v57
	v_fmac_f32_e32 v57, 0xbf59a7d5, v33
	v_dual_mul_f32 v71, 0x3f65296c, v32 :: v_dual_add_f32 v50, v50, v61
	v_mul_f32_e32 v61, 0x3f763a35, v32
	s_delay_alu instid0(VALU_DEP_3) | instskip(SKIP_2) | instid1(VALU_DEP_4)
	v_add_f32_e32 v37, v57, v37
	v_dual_add_f32 v57, v58, v62 :: v_dual_fmamk_f32 v62, v72, 0x3ee437d1, v56
	v_mul_f32_e32 v32, 0x3eb8f4ab, v32
	v_fma_f32 v58, 0xbe8c1d8e, v33, -v61
	s_delay_alu instid0(VALU_DEP_1) | instskip(NEXT) | instid1(VALU_DEP_1)
	v_dual_fmac_f32 v61, 0xbe8c1d8e, v33 :: v_dual_add_f32 v58, v58, v64
	v_add_f32_e32 v60, v61, v63
	v_add_f32_e32 v61, v62, v67
	v_fma_f32 v67, 0x3f6eb680, v33, -v32
	v_fma_f32 v62, 0x3ee437d1, v33, -v71
	v_fmac_f32_e32 v71, 0x3ee437d1, v33
	v_mul_f32_e32 v63, 0x3eb8f4ab, v70
	s_delay_alu instid0(VALU_DEP_4) | instskip(SKIP_2) | instid1(VALU_DEP_4)
	v_add_f32_e32 v41, v67, v41
	v_fma_f32 v56, 0x3ee437d1, v72, -v56
	v_dual_add_f32 v62, v62, v68 :: v_dual_add_f32 v67, v25, v27
	v_dual_sub_f32 v25, v25, v27 :: v_dual_fmamk_f32 v64, v72, 0x3f6eb680, v63
	s_delay_alu instid0(VALU_DEP_3) | instskip(SKIP_3) | instid1(VALU_DEP_3)
	v_dual_add_f32 v56, v56, v65 :: v_dual_add_f32 v65, v71, v66
	v_sub_f32_e32 v66, v26, v28
	v_fma_f32 v63, 0x3f6eb680, v72, -v63
	v_add_f32_e32 v26, v26, v28
	v_dual_mul_f32 v28, 0xbf65296c, v25 :: v_dual_mul_f32 v27, 0xbf65296c, v66
	s_delay_alu instid0(VALU_DEP_3) | instskip(NEXT) | instid1(VALU_DEP_2)
	v_add_f32_e32 v29, v63, v29
	v_fma_f32 v63, 0x3ee437d1, v26, -v28
	v_fmac_f32_e32 v32, 0x3f6eb680, v33
	s_delay_alu instid0(VALU_DEP_4) | instskip(SKIP_1) | instid1(VALU_DEP_4)
	v_fmamk_f32 v33, v67, 0x3ee437d1, v27
	v_fma_f32 v27, 0x3ee437d1, v67, -v27
	v_dual_add_f32 v64, v64, v69 :: v_dual_add_f32 v35, v63, v35
	v_mul_f32_e32 v63, 0xbf4c4adb, v25
	s_delay_alu instid0(VALU_DEP_4) | instskip(NEXT) | instid1(VALU_DEP_4)
	v_add_f32_e32 v33, v33, v34
	v_add_f32_e32 v27, v27, v42
	v_fmac_f32_e32 v28, 0x3ee437d1, v26
	v_add_f32_e32 v30, v32, v30
	v_fma_f32 v42, 0xbf1a4643, v26, -v63
	s_delay_alu instid0(VALU_DEP_3) | instskip(NEXT) | instid1(VALU_DEP_2)
	v_dual_fmac_f32 v63, 0xbf1a4643, v26 :: v_dual_add_f32 v28, v28, v39
	v_dual_mul_f32 v39, 0x3e3c28d5, v66 :: v_dual_add_f32 v42, v42, v43
	s_delay_alu instid0(VALU_DEP_1) | instskip(SKIP_2) | instid1(VALU_DEP_2)
	v_fmamk_f32 v68, v67, 0xbf7ba420, v39
	v_mul_f32_e32 v32, 0xbf4c4adb, v66
	v_fma_f32 v39, 0xbf7ba420, v67, -v39
	v_fmamk_f32 v34, v67, 0xbf1a4643, v32
	v_fma_f32 v32, 0xbf1a4643, v67, -v32
	s_delay_alu instid0(VALU_DEP_2) | instskip(NEXT) | instid1(VALU_DEP_2)
	v_dual_add_f32 v39, v39, v44 :: v_dual_add_f32 v34, v34, v53
	v_dual_mul_f32 v53, 0x3e3c28d5, v25 :: v_dual_add_f32 v32, v32, v38
	v_add_f32_e32 v38, v63, v45
	s_delay_alu instid0(VALU_DEP_2) | instskip(SKIP_1) | instid1(VALU_DEP_2)
	v_fma_f32 v43, 0xbf7ba420, v26, -v53
	v_fmac_f32_e32 v53, 0xbf7ba420, v26
	v_dual_add_f32 v43, v43, v54 :: v_dual_mul_f32 v54, 0x3f763a35, v25
	s_delay_alu instid0(VALU_DEP_2) | instskip(NEXT) | instid1(VALU_DEP_2)
	v_dual_add_f32 v44, v53, v47 :: v_dual_mul_f32 v47, 0x3f2c7751, v66
	v_fma_f32 v53, 0xbe8c1d8e, v26, -v54
	s_delay_alu instid0(VALU_DEP_1) | instskip(SKIP_1) | instid1(VALU_DEP_2)
	v_dual_fmac_f32 v54, 0xbe8c1d8e, v26 :: v_dual_add_f32 v53, v53, v55
	v_dual_add_f32 v45, v68, v52 :: v_dual_mul_f32 v52, 0x3f763a35, v66
	v_add_f32_e32 v49, v54, v49
	v_mul_f32_e32 v55, 0x3f2c7751, v25
	s_delay_alu instid0(VALU_DEP_3) | instskip(SKIP_1) | instid1(VALU_DEP_3)
	v_fmamk_f32 v63, v67, 0xbe8c1d8e, v52
	v_fma_f32 v52, 0xbe8c1d8e, v67, -v52
	v_fma_f32 v54, 0x3f3d2fb0, v26, -v55
	s_delay_alu instid0(VALU_DEP_3) | instskip(NEXT) | instid1(VALU_DEP_3)
	v_dual_fmac_f32 v55, 0x3f3d2fb0, v26 :: v_dual_add_f32 v48, v63, v48
	v_dual_fmamk_f32 v63, v67, 0x3f3d2fb0, v47 :: v_dual_add_f32 v46, v52, v46
	v_fma_f32 v47, 0x3f3d2fb0, v67, -v47
	s_delay_alu instid0(VALU_DEP_3) | instskip(NEXT) | instid1(VALU_DEP_3)
	v_dual_add_f32 v50, v54, v50 :: v_dual_add_f32 v37, v55, v37
	v_dual_add_f32 v36, v63, v36 :: v_dual_mul_f32 v63, 0xbeb8f4ab, v25
	s_delay_alu instid0(VALU_DEP_3) | instskip(SKIP_1) | instid1(VALU_DEP_3)
	v_add_f32_e32 v47, v47, v51
	v_mul_f32_e32 v55, 0xbf7ee86f, v66
	v_fma_f32 v51, 0x3f6eb680, v26, -v63
	v_fmac_f32_e32 v63, 0x3f6eb680, v26
	v_mul_f32_e32 v52, 0xbeb8f4ab, v66
	s_delay_alu instid0(VALU_DEP_3) | instskip(SKIP_1) | instid1(VALU_DEP_3)
	v_add_f32_e32 v51, v51, v58
	v_fmamk_f32 v58, v67, 0x3dbcf732, v55
	v_fmamk_f32 v68, v67, 0x3f6eb680, v52
	v_fma_f32 v52, 0x3f6eb680, v67, -v52
	v_fma_f32 v55, 0x3dbcf732, v67, -v55
	s_delay_alu instid0(VALU_DEP_4) | instskip(NEXT) | instid1(VALU_DEP_4)
	v_add_f32_e32 v58, v58, v61
	v_add_f32_e32 v54, v68, v57
	s_delay_alu instid0(VALU_DEP_4) | instskip(SKIP_2) | instid1(VALU_DEP_3)
	v_dual_mul_f32 v57, 0xbf7ee86f, v25 :: v_dual_add_f32 v52, v52, v59
	v_dual_add_f32 v59, v63, v60 :: v_dual_mul_f32 v60, 0xbf06c442, v66
	v_mul_f32_e32 v25, 0xbf06c442, v25
	v_fma_f32 v63, 0x3dbcf732, v26, -v57
	v_fmac_f32_e32 v57, 0x3dbcf732, v26
	v_add_f32_e32 v55, v55, v56
	v_fmamk_f32 v61, v67, 0xbf59a7d5, v60
	v_fma_f32 v60, 0xbf59a7d5, v67, -v60
	v_add_f32_e32 v62, v63, v62
	v_add_f32_e32 v56, v57, v65
	v_fma_f32 v63, 0xbf59a7d5, v26, -v25
	v_add_f32_e32 v57, v61, v64
	v_dual_sub_f32 v61, v22, v24 :: v_dual_sub_f32 v64, v21, v23
	v_add_f32_e32 v21, v21, v23
	s_delay_alu instid0(VALU_DEP_4) | instskip(NEXT) | instid1(VALU_DEP_3)
	v_dual_fmac_f32 v25, 0xbf59a7d5, v26 :: v_dual_add_f32 v26, v63, v41
	v_dual_mul_f32 v23, 0xbf7ee86f, v61 :: v_dual_add_f32 v22, v22, v24
	s_delay_alu instid0(VALU_DEP_4) | instskip(NEXT) | instid1(VALU_DEP_3)
	v_dual_mul_f32 v24, 0xbf7ee86f, v64 :: v_dual_add_f32 v29, v60, v29
	v_dual_add_f32 v25, v25, v30 :: v_dual_mul_f32 v60, 0xbe3c28d5, v61
	s_delay_alu instid0(VALU_DEP_3) | instskip(NEXT) | instid1(VALU_DEP_3)
	v_fmamk_f32 v41, v21, 0x3dbcf732, v23
	v_fma_f32 v30, 0x3dbcf732, v22, -v24
	v_fmac_f32_e32 v24, 0x3dbcf732, v22
	v_fma_f32 v23, 0x3dbcf732, v21, -v23
	v_mul_f32_e32 v63, 0x3f763a35, v64
	s_delay_alu instid0(VALU_DEP_4) | instskip(NEXT) | instid1(VALU_DEP_4)
	v_dual_add_f32 v33, v41, v33 :: v_dual_add_f32 v30, v30, v35
	v_dual_add_f32 v24, v24, v28 :: v_dual_fmamk_f32 v35, v21, 0xbf7ba420, v60
	v_mul_f32_e32 v41, 0xbe3c28d5, v64
	v_add_f32_e32 v23, v23, v27
	s_delay_alu instid0(VALU_DEP_3) | instskip(SKIP_3) | instid1(VALU_DEP_3)
	v_add_f32_e32 v28, v35, v34
	v_fma_f32 v35, 0xbf7ba420, v21, -v60
	v_mul_f32_e32 v27, 0x3f763a35, v61
	v_fma_f32 v34, 0xbf7ba420, v22, -v41
	v_add_f32_e32 v32, v35, v32
	s_delay_alu instid0(VALU_DEP_3) | instskip(SKIP_1) | instid1(VALU_DEP_4)
	v_fmamk_f32 v60, v21, 0xbe8c1d8e, v27
	v_fmac_f32_e32 v41, 0xbf7ba420, v22
	v_add_f32_e32 v34, v34, v42
	v_mul_f32_e32 v42, 0x3eb8f4ab, v61
	v_fma_f32 v27, 0xbe8c1d8e, v21, -v27
	s_delay_alu instid0(VALU_DEP_4) | instskip(SKIP_2) | instid1(VALU_DEP_4)
	v_add_f32_e32 v35, v41, v38
	v_fma_f32 v41, 0xbe8c1d8e, v22, -v63
	v_add_f32_e32 v38, v60, v45
	v_dual_mul_f32 v60, 0xbf65296c, v61 :: v_dual_add_f32 v27, v27, v39
	s_delay_alu instid0(VALU_DEP_3) | instskip(SKIP_3) | instid1(VALU_DEP_3)
	v_add_f32_e32 v41, v41, v43
	v_fmamk_f32 v43, v21, 0x3f6eb680, v42
	v_fma_f32 v42, 0x3f6eb680, v21, -v42
	v_mul_f32_e32 v45, 0x3eb8f4ab, v64
	v_dual_add_f32 v43, v43, v48 :: v_dual_fmamk_f32 v48, v21, 0x3ee437d1, v60
	v_fmac_f32_e32 v63, 0xbe8c1d8e, v22
	s_delay_alu instid0(VALU_DEP_4) | instskip(SKIP_1) | instid1(VALU_DEP_4)
	v_add_f32_e32 v42, v42, v46
	v_mul_f32_e32 v46, 0xbf06c442, v61
	v_add_f32_e32 v36, v48, v36
	s_delay_alu instid0(VALU_DEP_4) | instskip(SKIP_1) | instid1(VALU_DEP_1)
	v_add_f32_e32 v39, v63, v44
	v_fma_f32 v44, 0x3f6eb680, v22, -v45
	v_dual_mul_f32 v63, 0xbf06c442, v64 :: v_dual_add_f32 v44, v44, v53
	v_mul_f32_e32 v53, 0xbf65296c, v64
	s_delay_alu instid0(VALU_DEP_1) | instskip(NEXT) | instid1(VALU_DEP_1)
	v_fma_f32 v48, 0x3ee437d1, v22, -v53
	v_add_f32_e32 v48, v48, v50
	s_delay_alu instid0(VALU_DEP_4) | instskip(NEXT) | instid1(VALU_DEP_1)
	v_fma_f32 v50, 0xbf59a7d5, v22, -v63
	v_dual_fmac_f32 v45, 0x3f6eb680, v22 :: v_dual_add_f32 v50, v50, v51
	s_delay_alu instid0(VALU_DEP_1) | instskip(SKIP_3) | instid1(VALU_DEP_3)
	v_add_f32_e32 v45, v45, v49
	v_fma_f32 v49, 0x3ee437d1, v21, -v60
	v_fmamk_f32 v60, v21, 0xbf59a7d5, v46
	v_fma_f32 v46, 0xbf59a7d5, v21, -v46
	v_add_f32_e32 v47, v49, v47
	s_delay_alu instid0(VALU_DEP_3) | instskip(SKIP_1) | instid1(VALU_DEP_4)
	v_dual_add_f32 v49, v60, v54 :: v_dual_mul_f32 v60, 0x3f2c7751, v61
	v_mul_f32_e32 v54, 0x3f4c4adb, v64
	v_add_f32_e32 v46, v46, v52
	s_delay_alu instid0(VALU_DEP_2) | instskip(SKIP_1) | instid1(VALU_DEP_2)
	v_fma_f32 v52, 0xbf1a4643, v22, -v54
	v_fmac_f32_e32 v54, 0xbf1a4643, v22
	v_add_f32_e32 v52, v52, v62
	s_delay_alu instid0(VALU_DEP_2) | instskip(NEXT) | instid1(VALU_DEP_1)
	v_dual_fmac_f32 v53, 0x3ee437d1, v22 :: v_dual_add_f32 v54, v54, v56
	v_add_f32_e32 v37, v53, v37
	v_mul_f32_e32 v53, 0x3f4c4adb, v61
	v_mul_f32_e32 v61, 0x3f2c7751, v64
	s_delay_alu instid0(VALU_DEP_2) | instskip(NEXT) | instid1(VALU_DEP_1)
	v_fmamk_f32 v51, v21, 0xbf1a4643, v53
	v_dual_add_f32 v51, v51, v58 :: v_dual_fmamk_f32 v58, v21, 0x3f3d2fb0, v60
	s_delay_alu instid0(VALU_DEP_1)
	v_add_f32_e32 v56, v58, v57
	v_add_f32_e32 v58, v17, v19
	v_fma_f32 v53, 0xbf1a4643, v21, -v53
	v_sub_f32_e32 v17, v17, v19
	v_fmac_f32_e32 v63, 0xbf59a7d5, v22
	v_fma_f32 v57, 0x3f3d2fb0, v22, -v61
	v_fma_f32 v19, 0x3f3d2fb0, v21, -v60
	v_add_f32_e32 v53, v53, v55
	v_sub_f32_e32 v55, v18, v20
	v_dual_add_f32 v18, v18, v20 :: v_dual_mul_f32 v21, 0xbf763a35, v17
	v_fmac_f32_e32 v61, 0x3f3d2fb0, v22
	v_dual_add_f32 v22, v57, v26 :: v_dual_add_f32 v19, v19, v29
	s_delay_alu instid0(VALU_DEP_3) | instskip(SKIP_1) | instid1(VALU_DEP_2)
	v_fma_f32 v26, 0xbe8c1d8e, v18, -v21
	v_fmac_f32_e32 v21, 0xbe8c1d8e, v18
	v_dual_add_f32 v26, v26, v30 :: v_dual_mul_f32 v57, 0x3f06c442, v17
	s_delay_alu instid0(VALU_DEP_2) | instskip(NEXT) | instid1(VALU_DEP_2)
	v_dual_add_f32 v21, v21, v24 :: v_dual_mul_f32 v60, 0xbf65296c, v17
	v_fma_f32 v24, 0xbf59a7d5, v18, -v57
	s_delay_alu instid0(VALU_DEP_1) | instskip(SKIP_4) | instid1(VALU_DEP_4)
	v_add_f32_e32 v24, v24, v34
	v_mul_f32_e32 v62, 0xbf763a35, v55
	v_add_f32_e32 v59, v63, v59
	v_mul_f32_e32 v29, 0x3f06c442, v55
	v_mul_f32_e32 v34, 0x3f2c7751, v17
	v_fmamk_f32 v20, v58, 0xbe8c1d8e, v62
	s_delay_alu instid0(VALU_DEP_3) | instskip(NEXT) | instid1(VALU_DEP_2)
	v_fmamk_f32 v30, v58, 0xbf59a7d5, v29
	v_add_f32_e32 v20, v20, v33
	v_fma_f32 v33, 0xbe8c1d8e, v58, -v62
	s_delay_alu instid0(VALU_DEP_1) | instskip(SKIP_1) | instid1(VALU_DEP_1)
	v_dual_add_f32 v28, v30, v28 :: v_dual_add_f32 v23, v33, v23
	v_mul_f32_e32 v33, 0x3f2c7751, v55
	v_dual_add_f32 v25, v61, v25 :: v_dual_fmamk_f32 v30, v58, 0x3f3d2fb0, v33
	v_fma_f32 v33, 0x3f3d2fb0, v58, -v33
	s_delay_alu instid0(VALU_DEP_2) | instskip(SKIP_2) | instid1(VALU_DEP_2)
	v_add_f32_e32 v30, v30, v38
	v_fma_f32 v29, 0xbf59a7d5, v58, -v29
	v_fma_f32 v38, 0x3f3d2fb0, v18, -v34
	v_dual_fmac_f32 v34, 0x3f3d2fb0, v18 :: v_dual_add_f32 v29, v29, v32
	s_delay_alu instid0(VALU_DEP_2) | instskip(SKIP_1) | instid1(VALU_DEP_3)
	v_dual_add_f32 v38, v38, v41 :: v_dual_mul_f32 v41, 0xbe3c28d5, v55
	v_add_f32_e32 v27, v33, v27
	v_add_f32_e32 v33, v34, v39
	v_fma_f32 v39, 0x3ee437d1, v18, -v60
	s_delay_alu instid0(VALU_DEP_1) | instskip(SKIP_2) | instid1(VALU_DEP_2)
	v_dual_fmac_f32 v60, 0x3ee437d1, v18 :: v_dual_add_f32 v39, v39, v44
	v_fmamk_f32 v44, v58, 0xbf7ba420, v41
	v_fma_f32 v41, 0xbf7ba420, v58, -v41
	v_dual_add_f32 v36, v44, v36 :: v_dual_fmac_f32 v57, 0xbf59a7d5, v18
	s_delay_alu instid0(VALU_DEP_1) | instskip(SKIP_1) | instid1(VALU_DEP_1)
	v_add_f32_e32 v32, v57, v35
	v_mul_f32_e32 v35, 0xbf65296c, v55
	v_fmamk_f32 v57, v58, 0x3ee437d1, v35
	v_fma_f32 v35, 0x3ee437d1, v58, -v35
	s_delay_alu instid0(VALU_DEP_2) | instskip(NEXT) | instid1(VALU_DEP_2)
	v_dual_add_f32 v34, v57, v43 :: v_dual_mul_f32 v43, 0xbe3c28d5, v17
	v_dual_add_f32 v35, v35, v42 :: v_dual_add_f32 v42, v60, v45
	v_mul_f32_e32 v60, 0xbeb8f4ab, v17
	v_mul_f32_e32 v57, 0x3f7ee86f, v55
	s_delay_alu instid0(VALU_DEP_4) | instskip(SKIP_1) | instid1(VALU_DEP_2)
	v_fma_f32 v45, 0xbf7ba420, v18, -v43
	v_add_f32_e32 v41, v41, v47
	v_add_f32_e32 v44, v45, v48
	v_mul_f32_e32 v48, 0x3f7ee86f, v17
	v_fmamk_f32 v45, v58, 0x3dbcf732, v57
	v_mul_f32_e32 v17, 0xbf4c4adb, v17
	s_delay_alu instid0(VALU_DEP_3) | instskip(SKIP_4) | instid1(VALU_DEP_3)
	v_fma_f32 v47, 0x3dbcf732, v18, -v48
	v_fmac_f32_e32 v48, 0x3dbcf732, v18
	v_fmac_f32_e32 v43, 0xbf7ba420, v18
	v_add_f32_e32 v45, v45, v49
	v_fma_f32 v49, 0x3dbcf732, v58, -v57
	v_dual_add_f32 v48, v48, v59 :: v_dual_add_f32 v37, v43, v37
	s_delay_alu instid0(VALU_DEP_2) | instskip(NEXT) | instid1(VALU_DEP_1)
	v_dual_mul_f32 v43, 0xbeb8f4ab, v55 :: v_dual_add_f32 v46, v49, v46
	v_fmamk_f32 v57, v58, 0x3f6eb680, v43
	s_delay_alu instid0(VALU_DEP_1) | instskip(SKIP_3) | instid1(VALU_DEP_2)
	v_add_f32_e32 v49, v57, v51
	v_mul_f32_e32 v51, 0xbf4c4adb, v55
	v_fma_f32 v55, 0xbf1a4643, v18, -v17
	v_fmac_f32_e32 v17, 0xbf1a4643, v18
	v_add_f32_e32 v22, v55, v22
	v_fma_f32 v43, 0x3f6eb680, v58, -v43
	v_add_f32_e32 v55, v13, v15
	v_sub_f32_e32 v13, v13, v15
	v_add_f32_e32 v47, v47, v50
	v_fma_f32 v50, 0x3f6eb680, v18, -v60
	v_dual_fmac_f32 v60, 0x3f6eb680, v18 :: v_dual_add_f32 v43, v43, v53
	s_delay_alu instid0(VALU_DEP_1) | instskip(SKIP_2) | instid1(VALU_DEP_2)
	v_dual_add_f32 v50, v50, v52 :: v_dual_add_f32 v53, v60, v54
	v_sub_f32_e32 v54, v14, v16
	v_add_f32_e32 v14, v14, v16
	v_dual_mul_f32 v16, 0xbf4c4adb, v13 :: v_dual_mul_f32 v15, 0xbf4c4adb, v54
	s_delay_alu instid0(VALU_DEP_1) | instskip(NEXT) | instid1(VALU_DEP_1)
	v_fmamk_f32 v18, v55, 0xbf1a4643, v15
	v_add_f32_e32 v18, v18, v20
	v_fmamk_f32 v52, v58, 0xbf1a4643, v51
	v_fma_f32 v51, 0xbf1a4643, v58, -v51
	s_delay_alu instid0(VALU_DEP_1) | instskip(SKIP_2) | instid1(VALU_DEP_2)
	v_dual_add_f32 v52, v52, v56 :: v_dual_add_f32 v19, v51, v19
	v_fma_f32 v51, 0xbf1a4643, v14, -v16
	v_fmac_f32_e32 v16, 0xbf1a4643, v14
	v_add_f32_e32 v26, v51, v26
	s_delay_alu instid0(VALU_DEP_2) | instskip(SKIP_1) | instid1(VALU_DEP_2)
	v_dual_add_f32 v16, v16, v21 :: v_dual_mul_f32 v21, 0xbeb8f4ab, v54
	v_fma_f32 v15, 0xbf1a4643, v55, -v15
	v_dual_fmamk_f32 v56, v55, 0x3f6eb680, v21 :: v_dual_add_f32 v17, v17, v25
	v_mul_f32_e32 v25, 0x3f763a35, v54
	v_mul_f32_e32 v51, 0x3f763a35, v13
	s_delay_alu instid0(VALU_DEP_4)
	v_add_f32_e32 v15, v15, v23
	v_fma_f32 v21, 0x3f6eb680, v55, -v21
	v_add_f32_e32 v30, v56, v30
	v_fmamk_f32 v20, v55, 0xbe8c1d8e, v25
	v_fma_f32 v23, 0xbe8c1d8e, v14, -v51
	v_fma_f32 v25, 0xbe8c1d8e, v55, -v25
	v_fmac_f32_e32 v51, 0xbe8c1d8e, v14
	s_delay_alu instid0(VALU_DEP_4) | instskip(NEXT) | instid1(VALU_DEP_4)
	v_dual_add_f32 v21, v21, v27 :: v_dual_add_f32 v20, v20, v28
	v_dual_mul_f32 v28, 0xbeb8f4ab, v13 :: v_dual_add_f32 v23, v23, v24
	s_delay_alu instid0(VALU_DEP_3) | instskip(SKIP_1) | instid1(VALU_DEP_3)
	v_dual_add_f32 v24, v25, v29 :: v_dual_add_f32 v25, v51, v32
	v_mul_f32_e32 v32, 0xbf06c442, v54
	v_fma_f32 v29, 0x3f6eb680, v14, -v28
	v_fmac_f32_e32 v28, 0x3f6eb680, v14
	s_delay_alu instid0(VALU_DEP_3) | instskip(NEXT) | instid1(VALU_DEP_3)
	v_fmamk_f32 v51, v55, 0xbf59a7d5, v32
	v_dual_add_f32 v29, v29, v38 :: v_dual_mul_f32 v38, 0xbf06c442, v13
	s_delay_alu instid0(VALU_DEP_3) | instskip(SKIP_2) | instid1(VALU_DEP_4)
	v_add_f32_e32 v27, v28, v33
	v_fma_f32 v32, 0xbf59a7d5, v55, -v32
	v_mul_f32_e32 v28, 0x3f7ee86f, v54
	v_fma_f32 v33, 0xbf59a7d5, v14, -v38
	v_fmac_f32_e32 v38, 0xbf59a7d5, v14
	s_delay_alu instid0(VALU_DEP_4) | instskip(NEXT) | instid1(VALU_DEP_3)
	v_add_f32_e32 v32, v32, v35
	v_add_f32_e32 v33, v33, v39
	s_delay_alu instid0(VALU_DEP_3) | instskip(SKIP_2) | instid1(VALU_DEP_2)
	v_add_f32_e32 v35, v38, v42
	v_mul_f32_e32 v38, 0xbf2c7751, v54
	v_mul_f32_e32 v39, 0x3f7ee86f, v13
	v_fmamk_f32 v56, v55, 0x3f3d2fb0, v38
	v_fma_f32 v38, 0x3f3d2fb0, v55, -v38
	s_delay_alu instid0(VALU_DEP_3) | instskip(SKIP_1) | instid1(VALU_DEP_3)
	v_fma_f32 v42, 0x3dbcf732, v14, -v39
	v_fmac_f32_e32 v39, 0x3dbcf732, v14
	v_add_f32_e32 v38, v38, v46
	v_add_f32_e32 v34, v51, v34
	v_fmamk_f32 v51, v55, 0x3dbcf732, v28
	v_fma_f32 v28, 0x3dbcf732, v55, -v28
	v_dual_add_f32 v42, v42, v44 :: v_dual_add_f32 v37, v39, v37
	v_mul_f32_e32 v44, 0xbe3c28d5, v54
	s_delay_alu instid0(VALU_DEP_4) | instskip(NEXT) | instid1(VALU_DEP_4)
	v_dual_add_f32 v36, v51, v36 :: v_dual_mul_f32 v51, 0xbf2c7751, v13
	v_add_f32_e32 v28, v28, v41
	v_add_f32_e32 v41, v56, v45
	v_mul_f32_e32 v45, 0xbe3c28d5, v13
	v_mul_f32_e32 v13, 0x3f65296c, v13
	v_fma_f32 v39, 0x3f3d2fb0, v14, -v51
	v_fmac_f32_e32 v51, 0x3f3d2fb0, v14
	s_delay_alu instid0(VALU_DEP_2) | instskip(SKIP_1) | instid1(VALU_DEP_3)
	v_add_f32_e32 v39, v39, v47
	v_fmamk_f32 v47, v55, 0xbf7ba420, v44
	v_add_f32_e32 v46, v51, v48
	v_mul_f32_e32 v48, 0x3f65296c, v54
	v_fma_f32 v51, 0xbf7ba420, v14, -v45
	v_fma_f32 v44, 0xbf7ba420, v55, -v44
	v_add_f32_e32 v47, v47, v49
	s_delay_alu instid0(VALU_DEP_4) | instskip(NEXT) | instid1(VALU_DEP_4)
	v_fmamk_f32 v49, v55, 0x3ee437d1, v48
	v_add_f32_e32 v50, v51, v50
	v_fmac_f32_e32 v45, 0xbf7ba420, v14
	v_add_f32_e32 v43, v44, v43
	v_fma_f32 v51, 0x3ee437d1, v14, -v13
	v_fmac_f32_e32 v13, 0x3ee437d1, v14
	v_fma_f32 v48, 0x3ee437d1, v55, -v48
	v_add_f32_e32 v44, v45, v53
	v_add_f32_e32 v45, v49, v52
	v_sub_f32_e32 v52, v9, v11
	v_add_f32_e32 v9, v9, v11
	v_sub_f32_e32 v49, v10, v12
	v_dual_add_f32 v10, v10, v12 :: v_dual_add_f32 v13, v13, v17
	s_delay_alu instid0(VALU_DEP_4) | instskip(NEXT) | instid1(VALU_DEP_3)
	v_mul_f32_e32 v12, 0xbf06c442, v52
	v_dual_add_f32 v14, v51, v22 :: v_dual_mul_f32 v11, 0xbf06c442, v49
	v_mul_f32_e32 v51, 0xbf7ee86f, v52
	s_delay_alu instid0(VALU_DEP_3) | instskip(SKIP_1) | instid1(VALU_DEP_2)
	v_fma_f32 v17, 0xbf59a7d5, v10, -v12
	v_fmac_f32_e32 v12, 0xbf59a7d5, v10
	v_dual_add_f32 v17, v17, v26 :: v_dual_mul_f32 v26, 0x3f65296c, v52
	v_dual_fmamk_f32 v22, v9, 0xbf59a7d5, v11 :: v_dual_add_f32 v19, v48, v19
	v_mul_f32_e32 v48, 0x3f65296c, v49
	s_delay_alu instid0(VALU_DEP_4) | instskip(NEXT) | instid1(VALU_DEP_3)
	v_add_f32_e32 v12, v12, v16
	v_add_f32_e32 v18, v22, v18
	s_delay_alu instid0(VALU_DEP_3) | instskip(NEXT) | instid1(VALU_DEP_1)
	v_fmamk_f32 v22, v9, 0x3ee437d1, v48
	v_add_f32_e32 v16, v22, v20
	v_fma_f32 v22, 0x3ee437d1, v9, -v48
	v_fma_f32 v20, 0x3ee437d1, v10, -v26
	v_fmac_f32_e32 v26, 0x3ee437d1, v10
	s_delay_alu instid0(VALU_DEP_3) | instskip(SKIP_1) | instid1(VALU_DEP_4)
	v_add_f32_e32 v22, v22, v24
	v_fma_f32 v11, 0xbf59a7d5, v9, -v11
	v_add_f32_e32 v20, v20, v23
	s_delay_alu instid0(VALU_DEP_2) | instskip(SKIP_1) | instid1(VALU_DEP_1)
	v_add_f32_e32 v11, v11, v15
	v_mul_f32_e32 v15, 0xbf7ee86f, v49
	v_fmamk_f32 v48, v9, 0x3dbcf732, v15
	v_fma_f32 v15, 0x3dbcf732, v9, -v15
	s_delay_alu instid0(VALU_DEP_2)
	v_add_f32_e32 v24, v48, v30
	v_dual_mul_f32 v30, 0x3f4c4adb, v52 :: v_dual_add_f32 v23, v26, v25
	v_fma_f32 v25, 0x3dbcf732, v10, -v51
	v_mul_f32_e32 v26, 0x3f4c4adb, v49
	v_fmac_f32_e32 v51, 0x3dbcf732, v10
	v_add_f32_e32 v15, v15, v21
	v_mul_f32_e32 v48, 0xbeb8f4ab, v49
	v_add_f32_e32 v25, v25, v29
	v_fmamk_f32 v29, v9, 0xbf1a4643, v26
	v_add_f32_e32 v21, v51, v27
	v_fma_f32 v27, 0xbf1a4643, v10, -v30
	v_fma_f32 v26, 0xbf1a4643, v9, -v26
	v_fmac_f32_e32 v30, 0xbf1a4643, v10
	s_delay_alu instid0(VALU_DEP_2) | instskip(SKIP_2) | instid1(VALU_DEP_4)
	v_add_f32_e32 v26, v26, v32
	v_mul_f32_e32 v32, 0xbe3c28d5, v49
	v_add_f32_e32 v27, v27, v33
	v_dual_fmamk_f32 v33, v9, 0x3f6eb680, v48 :: v_dual_add_f32 v30, v30, v35
	s_delay_alu instid0(VALU_DEP_1) | instskip(SKIP_3) | instid1(VALU_DEP_3)
	v_add_f32_e32 v33, v33, v36
	v_fma_f32 v36, 0x3f6eb680, v9, -v48
	v_fmamk_f32 v48, v9, 0xbf7ba420, v32
	v_fma_f32 v32, 0xbf7ba420, v9, -v32
	v_add_f32_e32 v28, v36, v28
	s_delay_alu instid0(VALU_DEP_3) | instskip(NEXT) | instid1(VALU_DEP_3)
	v_add_f32_e32 v36, v48, v41
	v_add_f32_e32 v32, v32, v38
	v_dual_add_f32 v29, v29, v34 :: v_dual_mul_f32 v34, 0xbeb8f4ab, v52
	v_mul_f32_e32 v48, 0xbf763a35, v49
	s_delay_alu instid0(VALU_DEP_2) | instskip(SKIP_1) | instid1(VALU_DEP_2)
	v_fma_f32 v35, 0x3f6eb680, v10, -v34
	v_fmac_f32_e32 v34, 0x3f6eb680, v10
	v_dual_add_f32 v35, v35, v42 :: v_dual_mul_f32 v42, 0x3f2c7751, v52
	s_delay_alu instid0(VALU_DEP_2) | instskip(NEXT) | instid1(VALU_DEP_2)
	v_add_f32_e32 v34, v34, v37
	v_fma_f32 v38, 0x3f3d2fb0, v10, -v42
	v_mul_f32_e32 v51, 0xbe3c28d5, v52
	v_fmac_f32_e32 v42, 0x3f3d2fb0, v10
	s_delay_alu instid0(VALU_DEP_3) | instskip(NEXT) | instid1(VALU_DEP_3)
	v_add_f32_e32 v38, v38, v50
	v_fma_f32 v37, 0xbf7ba420, v10, -v51
	s_delay_alu instid0(VALU_DEP_3) | instskip(SKIP_2) | instid1(VALU_DEP_3)
	v_dual_fmac_f32 v51, 0xbf7ba420, v10 :: v_dual_add_f32 v42, v42, v44
	v_mul_f32_e32 v41, 0x3f2c7751, v49
	v_mul_f32_e32 v49, 0xbf763a35, v52
	v_dual_add_f32 v37, v37, v39 :: v_dual_add_f32 v46, v51, v46
	s_delay_alu instid0(VALU_DEP_3) | instskip(SKIP_1) | instid1(VALU_DEP_2)
	v_fmamk_f32 v39, v9, 0x3f3d2fb0, v41
	v_fma_f32 v41, 0x3f3d2fb0, v9, -v41
	v_add_f32_e32 v39, v39, v47
	v_fmamk_f32 v47, v9, 0xbe8c1d8e, v48
	s_delay_alu instid0(VALU_DEP_1) | instskip(NEXT) | instid1(VALU_DEP_4)
	v_dual_add_f32 v44, v47, v45 :: v_dual_add_f32 v47, v5, v7
	v_add_f32_e32 v41, v41, v43
	v_sub_f32_e32 v43, v6, v8
	v_sub_f32_e32 v5, v5, v7
	v_fma_f32 v45, 0xbe8c1d8e, v10, -v49
	v_fma_f32 v7, 0xbe8c1d8e, v9, -v48
	v_add_f32_e32 v6, v6, v8
	s_delay_alu instid0(VALU_DEP_4) | instskip(SKIP_3) | instid1(VALU_DEP_4)
	v_dual_mul_f32 v50, 0xbe3c28d5, v43 :: v_dual_mul_f32 v9, 0xbe3c28d5, v5
	v_fmac_f32_e32 v49, 0xbe8c1d8e, v10
	v_dual_add_f32 v10, v45, v14 :: v_dual_mul_f32 v45, 0x3eb8f4ab, v5
	v_add_f32_e32 v7, v7, v19
	v_fma_f32 v14, 0xbf7ba420, v6, -v9
	s_delay_alu instid0(VALU_DEP_1) | instskip(SKIP_2) | instid1(VALU_DEP_3)
	v_dual_fmac_f32 v9, 0xbf7ba420, v6 :: v_dual_add_f32 v14, v14, v17
	v_fmamk_f32 v8, v47, 0xbf7ba420, v50
	v_fma_f32 v19, 0xbf7ba420, v47, -v50
	v_add_f32_e32 v9, v9, v12
	v_fma_f32 v12, 0x3f6eb680, v6, -v45
	v_fmac_f32_e32 v45, 0x3f6eb680, v6
	v_add_f32_e32 v8, v8, v18
	v_mul_f32_e32 v18, 0x3eb8f4ab, v43
	s_delay_alu instid0(VALU_DEP_4) | instskip(SKIP_1) | instid1(VALU_DEP_3)
	v_add_f32_e32 v12, v12, v20
	v_dual_mul_f32 v20, 0xbf06c442, v5 :: v_dual_add_f32 v11, v19, v11
	v_fmamk_f32 v17, v47, 0x3f6eb680, v18
	v_mul_f32_e32 v19, 0xbf06c442, v43
	v_mul_f32_e32 v48, 0x3f2c7751, v5
	s_delay_alu instid0(VALU_DEP_3) | instskip(SKIP_1) | instid1(VALU_DEP_4)
	v_add_f32_e32 v16, v17, v16
	v_fma_f32 v17, 0x3f6eb680, v47, -v18
	v_dual_fmamk_f32 v18, v47, 0xbf59a7d5, v19 :: v_dual_add_f32 v13, v49, v13
	s_delay_alu instid0(VALU_DEP_1) | instskip(SKIP_3) | instid1(VALU_DEP_3)
	v_dual_add_f32 v17, v17, v22 :: v_dual_add_f32 v18, v18, v24
	v_fma_f32 v24, 0xbf59a7d5, v6, -v20
	v_fmac_f32_e32 v20, 0xbf59a7d5, v6
	v_add_f32_e32 v22, v45, v23
	v_add_f32_e32 v24, v24, v25
	s_delay_alu instid0(VALU_DEP_3)
	v_add_f32_e32 v20, v20, v21
	v_fma_f32 v19, 0xbf59a7d5, v47, -v19
	v_fma_f32 v21, 0x3f3d2fb0, v6, -v48
	v_fmac_f32_e32 v48, 0x3f3d2fb0, v6
	v_mul_f32_e32 v23, 0x3f2c7751, v43
	v_mul_f32_e32 v25, 0xbf4c4adb, v43
	v_add_f32_e32 v15, v19, v15
	s_delay_alu instid0(VALU_DEP_3) | instskip(SKIP_1) | instid1(VALU_DEP_2)
	v_fmamk_f32 v45, v47, 0x3f3d2fb0, v23
	v_fma_f32 v23, 0x3f3d2fb0, v47, -v23
	v_add_f32_e32 v19, v45, v29
	v_mul_f32_e32 v29, 0xbf4c4adb, v5
	s_delay_alu instid0(VALU_DEP_3) | instskip(SKIP_2) | instid1(VALU_DEP_4)
	v_add_f32_e32 v23, v23, v26
	v_add_f32_e32 v26, v48, v30
	v_dual_mul_f32 v48, 0xbf763a35, v5 :: v_dual_add_f32 v27, v21, v27
	v_fma_f32 v30, 0xbf1a4643, v6, -v29
	v_fmamk_f32 v21, v47, 0xbf1a4643, v25
	v_fma_f32 v25, 0xbf1a4643, v47, -v25
	s_delay_alu instid0(VALU_DEP_3) | instskip(SKIP_1) | instid1(VALU_DEP_3)
	v_dual_fmac_f32 v29, 0xbf1a4643, v6 :: v_dual_add_f32 v30, v30, v35
	v_mul_f32_e32 v35, 0x3f65296c, v5
	v_add_f32_e32 v25, v25, v28
	s_delay_alu instid0(VALU_DEP_3) | instskip(SKIP_1) | instid1(VALU_DEP_4)
	v_dual_add_f32 v28, v29, v34 :: v_dual_mul_f32 v5, 0x3f7ee86f, v5
	v_mul_f32_e32 v29, 0xbf763a35, v43
	v_fma_f32 v34, 0x3ee437d1, v6, -v35
	v_fmac_f32_e32 v35, 0x3ee437d1, v6
	s_delay_alu instid0(VALU_DEP_1)
	v_dual_add_f32 v49, v34, v37 :: v_dual_add_f32 v46, v35, v46
	v_fma_f32 v35, 0xbe8c1d8e, v6, -v48
	v_mul_f32_e32 v45, 0x3f65296c, v43
	v_fma_f32 v37, 0x3dbcf732, v6, -v5
	v_fmac_f32_e32 v5, 0x3dbcf732, v6
	v_fmac_f32_e32 v48, 0xbe8c1d8e, v6
	v_add_f32_e32 v38, v35, v38
	s_delay_alu instid0(VALU_DEP_4) | instskip(SKIP_4) | instid1(VALU_DEP_3)
	v_add_f32_e32 v10, v37, v10
	v_add_f32_e32 v21, v21, v33
	v_fmamk_f32 v33, v47, 0x3ee437d1, v45
	v_add_f32_e32 v13, v5, v13
	v_and_b32_e32 v5, 0xff, v40
	v_add_f32_e32 v33, v33, v36
	v_fma_f32 v36, 0x3ee437d1, v47, -v45
	v_fmamk_f32 v45, v47, 0xbe8c1d8e, v29
	v_fma_f32 v29, 0xbe8c1d8e, v47, -v29
	v_mul_lo_u16 v5, 0xf1, v5
	s_delay_alu instid0(VALU_DEP_4) | instskip(NEXT) | instid1(VALU_DEP_3)
	v_add_f32_e32 v32, v36, v32
	v_dual_mul_f32 v36, 0x3f7ee86f, v43 :: v_dual_add_f32 v29, v29, v41
	v_mad_u32_u24 v41, 0x44, v40, 0
	v_add_f32_e32 v34, v45, v39
	v_lshrrev_b16 v5, 12, v5
	s_delay_alu instid0(VALU_DEP_4) | instskip(SKIP_1) | instid1(VALU_DEP_2)
	v_fmamk_f32 v35, v47, 0x3dbcf732, v36
	v_fma_f32 v36, 0x3dbcf732, v47, -v36
	v_add_f32_e32 v6, v35, v44
	ds_store_2addr_b32 v41, v0, v8 offset1:1
	ds_store_2addr_b32 v41, v16, v18 offset0:2 offset1:3
	ds_store_2addr_b32 v41, v19, v21 offset0:4 offset1:5
	;; [unrolled: 1-line block ×3, first 2 shown]
	v_dual_add_f32 v7, v36, v7 :: v_dual_lshlrev_b32 v0, 6, v40
	s_delay_alu instid0(VALU_DEP_1) | instskip(NEXT) | instid1(VALU_DEP_1)
	v_sub_nc_u32_e32 v0, v41, v0
	v_add_nc_u32_e32 v52, 0x1200, v0
	ds_store_2addr_b32 v41, v6, v7 offset0:8 offset1:9
	ds_store_2addr_b32 v41, v29, v32 offset0:10 offset1:11
	;; [unrolled: 1-line block ×4, first 2 shown]
	ds_store_b32 v41, v11 offset:64
	v_mul_lo_u16 v6, v5, 17
	v_add_nc_u32_e32 v44, 0x200, v0
	v_add_nc_u32_e32 v23, 0xc00, v0
	;; [unrolled: 1-line block ×4, first 2 shown]
	v_sub_nc_u16 v6, v40, v6
	global_wb scope:SCOPE_SE
	s_wait_dscnt 0x0
	s_wait_kmcnt 0x0
	s_barrier_signal -1
	s_barrier_wait -1
	global_inv scope:SCOPE_SE
	ds_load_2addr_b32 v[15:16], v0 offset1:102
	ds_load_2addr_b32 v[32:33], v44 offset0:76 offset1:178
	ds_load_2addr_b32 v[34:35], v19 offset0:152 offset1:254
	;; [unrolled: 1-line block ×3, first 2 shown]
	v_add_f32_e32 v39, v48, v42
	ds_load_2addr_b32 v[42:43], v23 offset0:48 offset1:150
	v_add_nc_u32_e32 v45, 0xe00, v0
	v_and_b32_e32 v6, 0xff, v6
	v_add_nc_u32_e32 v53, 0x1400, v0
	ds_load_2addr_b32 v[47:48], v45 offset0:124 offset1:226
	ds_load_2addr_b32 v[50:51], v52 offset0:72 offset1:174
	;; [unrolled: 1-line block ×3, first 2 shown]
	ds_load_b32 v86, v0 offset:6528
	v_lshlrev_b32_e32 v17, 7, v6
	global_wb scope:SCOPE_SE
	s_wait_dscnt 0x0
	s_barrier_signal -1
	s_barrier_wait -1
	global_inv scope:SCOPE_SE
	ds_store_2addr_b32 v41, v31, v14 offset1:1
	ds_store_2addr_b32 v41, v12, v24 offset0:2 offset1:3
	ds_store_2addr_b32 v41, v27, v30 offset0:4 offset1:5
	;; [unrolled: 1-line block ×7, first 2 shown]
	ds_store_b32 v41, v9 offset:64
	global_wb scope:SCOPE_SE
	s_wait_dscnt 0x0
	s_barrier_signal -1
	s_barrier_wait -1
	global_inv scope:SCOPE_SE
	s_clause 0x7
	global_load_b128 v[7:10], v17, s[4:5]
	global_load_b128 v[11:14], v17, s[4:5] offset:16
	global_load_b128 v[24:27], v17, s[4:5] offset:32
	;; [unrolled: 1-line block ×7, first 2 shown]
	ds_load_2addr_b32 v[17:18], v0 offset1:102
	ds_load_2addr_b32 v[38:39], v44 offset0:76 offset1:178
	ds_load_2addr_b32 v[54:55], v19 offset0:152 offset1:254
	;; [unrolled: 1-line block ×7, first 2 shown]
	ds_load_b32 v87, v0 offset:6528
	v_and_b32_e32 v5, 0xffff, v5
	global_wb scope:SCOPE_SE
	s_wait_loadcnt_dscnt 0x0
	s_barrier_signal -1
	s_barrier_wait -1
	global_inv scope:SCOPE_SE
	v_mul_u32_u24_e32 v5, 0x484, v5
	v_lshlrev_b32_e32 v6, 2, v6
	v_mul_f32_e32 v56, v18, v8
	v_mul_f32_e32 v8, v16, v8
	;; [unrolled: 1-line block ×5, first 2 shown]
	v_fmac_f32_e32 v56, v16, v7
	v_fma_f32 v57, v18, v7, -v8
	v_mul_f32_e32 v8, v33, v12
	v_fmac_f32_e32 v52, v32, v9
	v_fma_f32 v53, v38, v9, -v10
	v_mul_f32_e32 v9, v34, v14
	v_add_f32_e32 v7, v15, v56
	v_fma_f32 v49, v39, v11, -v8
	v_mul_f32_e32 v39, v55, v25
	v_mul_f32_e32 v8, v35, v25
	v_fma_f32 v45, v54, v13, -v9
	v_mul_f32_e32 v9, v36, v27
	v_mul_f32_e32 v25, v77, v29
	v_fmac_f32_e32 v39, v35, v24
	v_mul_f32_e32 v35, v76, v27
	v_fma_f32 v41, v55, v24, -v8
	v_mul_f32_e32 v8, v37, v29
	v_fmac_f32_e32 v25, v37, v28
	v_mul_f32_e32 v37, v81, v63
	v_fmac_f32_e32 v35, v36, v26
	v_fma_f32 v36, v76, v26, -v9
	v_fma_f32 v26, v77, v28, -v8
	s_delay_alu instid0(VALU_DEP_4) | instskip(SKIP_3) | instid1(VALU_DEP_4)
	v_dual_mul_f32 v8, v43, v59 :: v_dual_fmac_f32 v37, v48, v62
	v_mul_f32_e32 v18, v78, v31
	v_fmac_f32_e32 v46, v33, v11
	v_mul_f32_e32 v44, v54, v14
	v_fma_f32 v24, v79, v58, -v8
	v_mul_f32_e32 v8, v48, v63
	v_fmac_f32_e32 v18, v42, v30
	v_mul_f32_e32 v20, v79, v59
	v_fmac_f32_e32 v44, v34, v13
	v_mul_f32_e32 v27, v80, v61
	v_fma_f32 v38, v81, v62, -v8
	v_mul_f32_e32 v62, v87, v73
	v_mul_f32_e32 v8, v86, v73
	v_fmac_f32_e32 v20, v43, v58
	s_delay_alu instid0(VALU_DEP_3) | instskip(NEXT) | instid1(VALU_DEP_3)
	v_dual_mul_f32 v11, v75, v71 :: v_dual_fmac_f32 v62, v86, v72
	v_fma_f32 v54, v87, v72, -v8
	v_mul_f32_e32 v8, v74, v69
	s_delay_alu instid0(VALU_DEP_3) | instskip(NEXT) | instid1(VALU_DEP_4)
	v_fma_f32 v55, v85, v70, -v11
	v_dual_add_f32 v12, v56, v62 :: v_dual_mul_f32 v9, v42, v31
	v_dual_mul_f32 v42, v82, v65 :: v_dual_add_f32 v7, v7, v52
	v_dual_sub_f32 v10, v57, v54 :: v_dual_fmac_f32 v27, v47, v60
	s_delay_alu instid0(VALU_DEP_3) | instskip(NEXT) | instid1(VALU_DEP_3)
	v_fma_f32 v22, v78, v30, -v9
	v_dual_mul_f32 v9, v47, v61 :: v_dual_fmac_f32 v42, v50, v64
	s_delay_alu instid0(VALU_DEP_3) | instskip(SKIP_2) | instid1(VALU_DEP_4)
	v_mul_f32_e32 v32, 0xbf4c4adb, v10
	v_mul_f32_e32 v58, 0xbf06c442, v10
	;; [unrolled: 1-line block ×3, first 2 shown]
	v_fma_f32 v28, v80, v60, -v9
	v_mul_f32_e32 v9, v50, v65
	v_dual_mul_f32 v50, v84, v69 :: v_dual_add_f32 v7, v7, v46
	v_fmamk_f32 v59, v12, 0xbf59a7d5, v58
	v_fma_f32 v58, 0xbf59a7d5, v12, -v58
	s_delay_alu instid0(VALU_DEP_3) | instskip(NEXT) | instid1(VALU_DEP_4)
	v_dual_mul_f32 v61, v85, v71 :: v_dual_fmac_f32 v50, v74, v68
	v_dual_add_f32 v7, v7, v44 :: v_dual_sub_f32 v60, v53, v55
	s_delay_alu instid0(VALU_DEP_3) | instskip(NEXT) | instid1(VALU_DEP_3)
	v_add_f32_e32 v58, v15, v58
	v_fmac_f32_e32 v61, v75, v70
	v_fma_f32 v43, v82, v64, -v9
	v_mul_f32_e32 v9, v51, v67
	v_mul_f32_e32 v65, 0xbf2c7751, v60
	;; [unrolled: 1-line block ×3, first 2 shown]
	v_add_f32_e32 v7, v7, v39
	v_mul_f32_e32 v29, 0xbf7ee86f, v10
	v_fma_f32 v48, v83, v66, -v9
	v_mul_f32_e32 v9, 0xbf2c7751, v10
	v_fmac_f32_e32 v47, v51, v66
	v_fma_f32 v51, v84, v68, -v8
	v_fmamk_f32 v8, v12, 0x3f6eb680, v13
	v_fmamk_f32 v30, v12, 0x3dbcf732, v29
	;; [unrolled: 1-line block ×3, first 2 shown]
	v_fma_f32 v11, 0x3f6eb680, v12, -v13
	s_delay_alu instid0(VALU_DEP_4) | instskip(SKIP_1) | instid1(VALU_DEP_4)
	v_dual_mul_f32 v13, 0xbf65296c, v10 :: v_dual_add_f32 v8, v15, v8
	v_add_f32_e32 v7, v7, v35
	v_add_f32_e32 v14, v15, v14
	v_mul_f32_e32 v31, 0xbf763a35, v10
	v_fmamk_f32 v34, v12, 0xbf1a4643, v32
	s_delay_alu instid0(VALU_DEP_4) | instskip(SKIP_3) | instid1(VALU_DEP_4)
	v_dual_mul_f32 v10, 0xbe3c28d5, v10 :: v_dual_add_f32 v7, v7, v25
	v_fma_f32 v9, 0x3f3d2fb0, v12, -v9
	v_fmamk_f32 v16, v12, 0x3ee437d1, v13
	v_fma_f32 v13, 0x3ee437d1, v12, -v13
	v_fmamk_f32 v63, v12, 0xbf7ba420, v10
	v_add_f32_e32 v7, v7, v18
	v_fma_f32 v29, 0x3dbcf732, v12, -v29
	v_fma_f32 v32, 0xbf1a4643, v12, -v32
	v_add_f32_e32 v64, v52, v61
	v_fma_f32 v10, 0xbf7ba420, v12, -v10
	v_add_f32_e32 v7, v7, v20
	v_fmamk_f32 v33, v12, 0xbe8c1d8e, v31
	v_fma_f32 v31, 0xbe8c1d8e, v12, -v31
	v_add_f32_e32 v12, v15, v63
	v_add_f32_e32 v10, v15, v10
	;; [unrolled: 1-line block ×3, first 2 shown]
	v_mul_f32_e32 v63, 0xbf7ee86f, v60
	v_add_f32_e32 v9, v15, v9
	v_add_f32_e32 v11, v15, v11
	;; [unrolled: 1-line block ×4, first 2 shown]
	v_fmamk_f32 v67, v64, 0x3dbcf732, v63
	v_fma_f32 v63, 0x3dbcf732, v64, -v63
	v_add_f32_e32 v30, v15, v30
	v_add_f32_e32 v29, v15, v29
	;; [unrolled: 1-line block ×5, first 2 shown]
	v_dual_mul_f32 v63, 0x3f06c442, v60 :: v_dual_add_f32 v34, v15, v34
	v_add_f32_e32 v32, v15, v32
	v_dual_fmamk_f32 v66, v64, 0x3f3d2fb0, v65 :: v_dual_add_f32 v7, v7, v37
	v_fma_f32 v65, 0x3f3d2fb0, v64, -v65
	v_add_f32_e32 v14, v67, v14
	v_add_f32_e32 v59, v15, v59
	v_mul_f32_e32 v15, 0xbf4c4adb, v60
	v_dual_fmamk_f32 v67, v64, 0xbf59a7d5, v63 :: v_dual_add_f32 v8, v66, v8
	v_dual_add_f32 v7, v7, v42 :: v_dual_mul_f32 v66, 0xbe3c28d5, v60
	v_fma_f32 v63, 0xbf59a7d5, v64, -v63
	s_delay_alu instid0(VALU_DEP_3)
	v_add_f32_e32 v33, v67, v33
	v_add_f32_e32 v67, v46, v50
	;; [unrolled: 1-line block ×3, first 2 shown]
	v_fmamk_f32 v65, v64, 0xbf1a4643, v15
	v_fma_f32 v15, 0xbf1a4643, v64, -v15
	v_add_f32_e32 v31, v63, v31
	v_mul_f32_e32 v63, 0x3f65296c, v60
	s_delay_alu instid0(VALU_DEP_4) | instskip(NEXT) | instid1(VALU_DEP_4)
	v_dual_add_f32 v16, v65, v16 :: v_dual_fmamk_f32 v65, v64, 0xbf7ba420, v66
	v_add_f32_e32 v13, v15, v13
	v_fma_f32 v15, 0xbf7ba420, v64, -v66
	v_dual_mul_f32 v66, 0x3f763a35, v60 :: v_dual_add_f32 v7, v7, v47
	s_delay_alu instid0(VALU_DEP_2) | instskip(NEXT) | instid1(VALU_DEP_2)
	v_dual_add_f32 v30, v65, v30 :: v_dual_add_f32 v15, v15, v29
	v_fmamk_f32 v29, v64, 0xbe8c1d8e, v66
	s_delay_alu instid0(VALU_DEP_3) | instskip(SKIP_1) | instid1(VALU_DEP_3)
	v_add_f32_e32 v7, v7, v50
	v_fma_f32 v65, 0xbe8c1d8e, v64, -v66
	v_dual_add_f32 v29, v29, v34 :: v_dual_mul_f32 v34, 0x3eb8f4ab, v60
	s_delay_alu instid0(VALU_DEP_3) | instskip(NEXT) | instid1(VALU_DEP_3)
	v_dual_add_f32 v7, v7, v61 :: v_dual_sub_f32 v60, v49, v51
	v_dual_add_f32 v32, v65, v32 :: v_dual_fmamk_f32 v65, v64, 0x3ee437d1, v63
	v_fma_f32 v63, 0x3ee437d1, v64, -v63
	s_delay_alu instid0(VALU_DEP_3) | instskip(NEXT) | instid1(VALU_DEP_4)
	v_dual_add_f32 v7, v7, v62 :: v_dual_fmamk_f32 v66, v64, 0x3f6eb680, v34
	v_mul_f32_e32 v68, 0xbf65296c, v60
	v_fma_f32 v34, 0x3f6eb680, v64, -v34
	s_delay_alu instid0(VALU_DEP_4) | instskip(SKIP_1) | instid1(VALU_DEP_3)
	v_add_f32_e32 v58, v63, v58
	v_dual_mul_f32 v64, 0xbf4c4adb, v60 :: v_dual_add_f32 v59, v65, v59
	v_dual_fmamk_f32 v63, v67, 0x3ee437d1, v68 :: v_dual_add_f32 v10, v34, v10
	v_fma_f32 v34, 0x3ee437d1, v67, -v68
	v_mul_f32_e32 v65, 0x3e3c28d5, v60
	v_add_f32_e32 v12, v66, v12
	s_delay_alu instid0(VALU_DEP_4) | instskip(SKIP_4) | instid1(VALU_DEP_4)
	v_add_f32_e32 v8, v63, v8
	v_fmamk_f32 v63, v67, 0xbf1a4643, v64
	v_fma_f32 v64, 0xbf1a4643, v67, -v64
	v_dual_add_f32 v11, v34, v11 :: v_dual_fmamk_f32 v34, v67, 0xbf7ba420, v65
	v_mul_f32_e32 v66, 0x3f763a35, v60
	v_add_f32_e32 v14, v63, v14
	v_fma_f32 v63, 0xbf7ba420, v67, -v65
	s_delay_alu instid0(VALU_DEP_4) | instskip(NEXT) | instid1(VALU_DEP_4)
	v_dual_add_f32 v9, v64, v9 :: v_dual_add_f32 v16, v34, v16
	v_fmamk_f32 v34, v67, 0xbe8c1d8e, v66
	v_mul_f32_e32 v64, 0x3f2c7751, v60
	v_fma_f32 v65, 0xbe8c1d8e, v67, -v66
	v_add_f32_e32 v13, v63, v13
	s_delay_alu instid0(VALU_DEP_4) | instskip(NEXT) | instid1(VALU_DEP_3)
	v_dual_mul_f32 v63, 0xbeb8f4ab, v60 :: v_dual_add_f32 v30, v34, v30
	v_dual_fmamk_f32 v34, v67, 0x3f3d2fb0, v64 :: v_dual_add_f32 v15, v65, v15
	v_fma_f32 v64, 0x3f3d2fb0, v67, -v64
	s_delay_alu instid0(VALU_DEP_3) | instskip(SKIP_1) | instid1(VALU_DEP_2)
	v_fmamk_f32 v65, v67, 0x3f6eb680, v63
	v_mul_f32_e32 v66, 0xbf7ee86f, v60
	v_dual_mul_f32 v60, 0xbf06c442, v60 :: v_dual_add_f32 v29, v65, v29
	v_add_f32_e32 v65, v44, v47
	v_add_f32_e32 v33, v34, v33
	v_fma_f32 v34, 0x3f6eb680, v67, -v63
	v_add_f32_e32 v31, v64, v31
	v_fmamk_f32 v63, v67, 0x3dbcf732, v66
	v_fma_f32 v64, 0x3dbcf732, v67, -v66
	s_delay_alu instid0(VALU_DEP_4) | instskip(SKIP_1) | instid1(VALU_DEP_3)
	v_add_f32_e32 v32, v34, v32
	v_sub_f32_e32 v34, v45, v48
	v_add_f32_e32 v58, v64, v58
	s_delay_alu instid0(VALU_DEP_2) | instskip(NEXT) | instid1(VALU_DEP_1)
	v_mul_f32_e32 v66, 0xbf7ee86f, v34
	v_fmamk_f32 v64, v65, 0x3dbcf732, v66
	v_fma_f32 v66, 0x3dbcf732, v65, -v66
	s_delay_alu instid0(VALU_DEP_1) | instskip(SKIP_3) | instid1(VALU_DEP_2)
	v_dual_add_f32 v8, v64, v8 :: v_dual_add_f32 v11, v66, v11
	v_dual_mul_f32 v66, 0x3eb8f4ab, v34 :: v_dual_add_f32 v59, v63, v59
	v_fmamk_f32 v63, v67, 0xbf59a7d5, v60
	v_fma_f32 v60, 0xbf59a7d5, v67, -v60
	v_add_f32_e32 v12, v63, v12
	s_delay_alu instid0(VALU_DEP_2) | instskip(SKIP_1) | instid1(VALU_DEP_1)
	v_add_f32_e32 v10, v60, v10
	v_mul_f32_e32 v60, 0x3f763a35, v34
	v_fmamk_f32 v64, v65, 0xbe8c1d8e, v60
	v_fma_f32 v60, 0xbe8c1d8e, v65, -v60
	s_delay_alu instid0(VALU_DEP_2) | instskip(NEXT) | instid1(VALU_DEP_2)
	v_add_f32_e32 v16, v64, v16
	v_dual_fmamk_f32 v64, v65, 0x3f6eb680, v66 :: v_dual_add_f32 v13, v60, v13
	v_fma_f32 v60, 0x3f6eb680, v65, -v66
	v_mul_f32_e32 v66, 0xbf06c442, v34
	s_delay_alu instid0(VALU_DEP_3) | instskip(NEXT) | instid1(VALU_DEP_2)
	v_add_f32_e32 v30, v64, v30
	v_dual_add_f32 v15, v60, v15 :: v_dual_fmamk_f32 v60, v65, 0xbf59a7d5, v66
	v_fma_f32 v64, 0xbf59a7d5, v65, -v66
	s_delay_alu instid0(VALU_DEP_2) | instskip(NEXT) | instid1(VALU_DEP_2)
	v_dual_add_f32 v29, v60, v29 :: v_dual_sub_f32 v60, v41, v43
	v_dual_mul_f32 v63, 0xbe3c28d5, v34 :: v_dual_add_f32 v32, v64, v32
	s_delay_alu instid0(VALU_DEP_2) | instskip(NEXT) | instid1(VALU_DEP_2)
	v_mul_f32_e32 v68, 0xbf763a35, v60
	v_fmamk_f32 v67, v65, 0xbf7ba420, v63
	v_fma_f32 v63, 0xbf7ba420, v65, -v63
	s_delay_alu instid0(VALU_DEP_2) | instskip(NEXT) | instid1(VALU_DEP_2)
	v_add_f32_e32 v14, v67, v14
	v_add_f32_e32 v9, v63, v9
	v_mul_f32_e32 v63, 0xbf65296c, v34
	s_delay_alu instid0(VALU_DEP_1) | instskip(SKIP_1) | instid1(VALU_DEP_1)
	v_fmamk_f32 v67, v65, 0x3ee437d1, v63
	v_fma_f32 v63, 0x3ee437d1, v65, -v63
	v_add_f32_e32 v31, v63, v31
	v_mul_f32_e32 v63, 0x3f4c4adb, v34
	v_mul_f32_e32 v34, 0x3f2c7751, v34
	s_delay_alu instid0(VALU_DEP_2) | instskip(SKIP_2) | instid1(VALU_DEP_2)
	v_dual_fmamk_f32 v64, v65, 0xbf1a4643, v63 :: v_dual_add_f32 v33, v67, v33
	v_fma_f32 v63, 0xbf1a4643, v65, -v63
	v_add_f32_e32 v67, v39, v42
	v_add_f32_e32 v58, v63, v58
	s_delay_alu instid0(VALU_DEP_2) | instskip(NEXT) | instid1(VALU_DEP_1)
	v_fmamk_f32 v63, v67, 0xbe8c1d8e, v68
	v_add_f32_e32 v8, v63, v8
	v_fmamk_f32 v66, v65, 0x3f3d2fb0, v34
	v_fma_f32 v34, 0x3f3d2fb0, v65, -v34
	s_delay_alu instid0(VALU_DEP_2) | instskip(NEXT) | instid1(VALU_DEP_2)
	v_add_f32_e32 v12, v66, v12
	v_add_f32_e32 v10, v34, v10
	v_fma_f32 v34, 0xbe8c1d8e, v67, -v68
	v_mul_f32_e32 v65, 0x3f2c7751, v60
	v_dual_mul_f32 v66, 0xbf65296c, v60 :: v_dual_add_f32 v59, v64, v59
	s_delay_alu instid0(VALU_DEP_3) | instskip(NEXT) | instid1(VALU_DEP_3)
	v_dual_mul_f32 v64, 0x3f06c442, v60 :: v_dual_add_f32 v11, v34, v11
	v_fmamk_f32 v34, v67, 0x3f3d2fb0, v65
	s_delay_alu instid0(VALU_DEP_1) | instskip(NEXT) | instid1(VALU_DEP_4)
	v_add_f32_e32 v16, v34, v16
	v_fmamk_f32 v34, v67, 0x3ee437d1, v66
	s_delay_alu instid0(VALU_DEP_1) | instskip(SKIP_1) | instid1(VALU_DEP_2)
	v_dual_add_f32 v30, v34, v30 :: v_dual_fmamk_f32 v63, v67, 0xbf59a7d5, v64
	v_fma_f32 v64, 0xbf59a7d5, v67, -v64
	v_add_f32_e32 v14, v63, v14
	v_fma_f32 v63, 0x3f3d2fb0, v67, -v65
	v_fma_f32 v65, 0x3ee437d1, v67, -v66
	s_delay_alu instid0(VALU_DEP_4) | instskip(NEXT) | instid1(VALU_DEP_3)
	v_dual_mul_f32 v66, 0xbeb8f4ab, v60 :: v_dual_add_f32 v9, v64, v9
	v_dual_mul_f32 v64, 0xbe3c28d5, v60 :: v_dual_add_f32 v13, v63, v13
	v_mul_f32_e32 v63, 0x3f7ee86f, v60
	v_mul_f32_e32 v60, 0xbf4c4adb, v60
	s_delay_alu instid0(VALU_DEP_3) | instskip(SKIP_1) | instid1(VALU_DEP_2)
	v_fmamk_f32 v34, v67, 0xbf7ba420, v64
	v_fma_f32 v64, 0xbf7ba420, v67, -v64
	v_add_f32_e32 v33, v34, v33
	v_fma_f32 v34, 0x3dbcf732, v67, -v63
	s_delay_alu instid0(VALU_DEP_1) | instskip(SKIP_3) | instid1(VALU_DEP_1)
	v_add_f32_e32 v32, v34, v32
	v_dual_sub_f32 v34, v36, v38 :: v_dual_add_f32 v15, v65, v15
	v_fmamk_f32 v65, v67, 0x3dbcf732, v63
	v_fmamk_f32 v63, v67, 0x3f6eb680, v66
	v_add_f32_e32 v59, v63, v59
	v_fmamk_f32 v63, v67, 0xbf1a4643, v60
	s_delay_alu instid0(VALU_DEP_1) | instskip(SKIP_4) | instid1(VALU_DEP_2)
	v_dual_add_f32 v12, v63, v12 :: v_dual_add_f32 v29, v65, v29
	v_add_f32_e32 v65, v35, v37
	v_add_f32_e32 v31, v64, v31
	v_fma_f32 v64, 0x3f6eb680, v67, -v66
	v_mul_f32_e32 v66, 0xbf4c4adb, v34
	v_add_f32_e32 v58, v64, v58
	s_delay_alu instid0(VALU_DEP_2) | instskip(SKIP_2) | instid1(VALU_DEP_3)
	v_fmamk_f32 v64, v65, 0xbf1a4643, v66
	v_fma_f32 v60, 0xbf1a4643, v67, -v60
	v_fma_f32 v66, 0xbf1a4643, v65, -v66
	v_add_f32_e32 v8, v64, v8
	s_delay_alu instid0(VALU_DEP_3) | instskip(SKIP_1) | instid1(VALU_DEP_1)
	v_add_f32_e32 v10, v60, v10
	v_mul_f32_e32 v60, 0xbeb8f4ab, v34
	v_dual_fmamk_f32 v64, v65, 0x3f6eb680, v60 :: v_dual_add_f32 v11, v66, v11
	v_mul_f32_e32 v66, 0xbf06c442, v34
	v_fma_f32 v60, 0x3f6eb680, v65, -v60
	s_delay_alu instid0(VALU_DEP_3) | instskip(NEXT) | instid1(VALU_DEP_2)
	v_dual_add_f32 v16, v64, v16 :: v_dual_mul_f32 v63, 0x3f763a35, v34
	v_dual_fmamk_f32 v64, v65, 0xbf59a7d5, v66 :: v_dual_add_f32 v13, v60, v13
	v_fma_f32 v60, 0xbf59a7d5, v65, -v66
	v_mul_f32_e32 v66, 0xbf2c7751, v34
	s_delay_alu instid0(VALU_DEP_4) | instskip(SKIP_2) | instid1(VALU_DEP_3)
	v_fmamk_f32 v67, v65, 0xbe8c1d8e, v63
	v_fma_f32 v63, 0xbe8c1d8e, v65, -v63
	v_add_f32_e32 v30, v64, v30
	v_add_f32_e32 v14, v67, v14
	s_delay_alu instid0(VALU_DEP_3) | instskip(SKIP_1) | instid1(VALU_DEP_1)
	v_add_f32_e32 v9, v63, v9
	v_mul_f32_e32 v63, 0x3f7ee86f, v34
	v_fmamk_f32 v67, v65, 0x3dbcf732, v63
	v_fma_f32 v63, 0x3dbcf732, v65, -v63
	s_delay_alu instid0(VALU_DEP_2) | instskip(SKIP_2) | instid1(VALU_DEP_4)
	v_add_f32_e32 v33, v67, v33
	v_add_f32_e32 v67, v25, v27
	v_dual_add_f32 v15, v60, v15 :: v_dual_fmamk_f32 v60, v65, 0x3f3d2fb0, v66
	v_add_f32_e32 v31, v63, v31
	v_mul_f32_e32 v63, 0xbe3c28d5, v34
	s_delay_alu instid0(VALU_DEP_3) | instskip(SKIP_1) | instid1(VALU_DEP_1)
	v_dual_mul_f32 v34, 0x3f65296c, v34 :: v_dual_add_f32 v29, v60, v29
	v_sub_f32_e32 v60, v26, v28
	v_mul_f32_e32 v68, 0xbf06c442, v60
	v_fma_f32 v64, 0x3f3d2fb0, v65, -v66
	s_delay_alu instid0(VALU_DEP_4) | instskip(SKIP_1) | instid1(VALU_DEP_3)
	v_fmamk_f32 v66, v65, 0x3ee437d1, v34
	v_fma_f32 v34, 0x3ee437d1, v65, -v34
	v_add_f32_e32 v32, v64, v32
	v_fmamk_f32 v64, v65, 0xbf7ba420, v63
	v_fma_f32 v63, 0xbf7ba420, v65, -v63
	s_delay_alu instid0(VALU_DEP_4) | instskip(SKIP_4) | instid1(VALU_DEP_4)
	v_add_f32_e32 v10, v34, v10
	v_fma_f32 v34, 0xbf59a7d5, v67, -v68
	v_add_f32_e32 v12, v66, v12
	v_mul_f32_e32 v66, 0x3f4c4adb, v60
	v_dual_add_f32 v58, v63, v58 :: v_dual_mul_f32 v65, 0xbf7ee86f, v60
	v_add_f32_e32 v11, v34, v11
	v_dual_add_f32 v59, v64, v59 :: v_dual_mul_f32 v64, 0x3f65296c, v60
	s_delay_alu instid0(VALU_DEP_3) | instskip(NEXT) | instid1(VALU_DEP_1)
	v_fmamk_f32 v34, v67, 0x3dbcf732, v65
	v_add_f32_e32 v16, v34, v16
	v_fmamk_f32 v34, v67, 0xbf1a4643, v66
	s_delay_alu instid0(VALU_DEP_1) | instskip(NEXT) | instid1(VALU_DEP_1)
	v_dual_add_f32 v34, v34, v30 :: v_dual_fmamk_f32 v63, v67, 0xbf59a7d5, v68
	v_add_f32_e32 v8, v63, v8
	v_fmamk_f32 v63, v67, 0x3ee437d1, v64
	v_fma_f32 v64, 0x3ee437d1, v67, -v64
	s_delay_alu instid0(VALU_DEP_2) | instskip(SKIP_1) | instid1(VALU_DEP_3)
	v_add_f32_e32 v14, v63, v14
	v_fma_f32 v63, 0x3dbcf732, v67, -v65
	v_dual_add_f32 v9, v64, v9 :: v_dual_mul_f32 v64, 0xbeb8f4ab, v60
	v_fma_f32 v65, 0xbf1a4643, v67, -v66
	s_delay_alu instid0(VALU_DEP_3) | instskip(SKIP_1) | instid1(VALU_DEP_3)
	v_dual_mul_f32 v66, 0x3f2c7751, v60 :: v_dual_add_f32 v13, v63, v13
	v_mul_f32_e32 v63, 0xbe3c28d5, v60
	v_dual_fmamk_f32 v30, v67, 0x3f6eb680, v64 :: v_dual_add_f32 v15, v65, v15
	v_fma_f32 v64, 0x3f6eb680, v67, -v64
	s_delay_alu instid0(VALU_DEP_2) | instskip(SKIP_1) | instid1(VALU_DEP_3)
	v_dual_fmamk_f32 v65, v67, 0xbf7ba420, v63 :: v_dual_add_f32 v68, v30, v33
	v_fma_f32 v30, 0xbf7ba420, v67, -v63
	v_add_f32_e32 v63, v64, v31
	s_delay_alu instid0(VALU_DEP_3) | instskip(NEXT) | instid1(VALU_DEP_3)
	v_dual_mul_f32 v31, 0xbf763a35, v60 :: v_dual_add_f32 v64, v65, v29
	v_dual_fmamk_f32 v29, v67, 0x3f3d2fb0, v66 :: v_dual_add_f32 v60, v30, v32
	v_sub_f32_e32 v65, v22, v24
	v_fma_f32 v30, 0x3f3d2fb0, v67, -v66
	s_delay_alu instid0(VALU_DEP_3) | instskip(SKIP_1) | instid1(VALU_DEP_4)
	v_dual_add_f32 v66, v18, v20 :: v_dual_add_f32 v59, v29, v59
	v_fmamk_f32 v29, v67, 0xbe8c1d8e, v31
	v_mul_f32_e32 v32, 0xbe3c28d5, v65
	s_delay_alu instid0(VALU_DEP_4) | instskip(SKIP_1) | instid1(VALU_DEP_4)
	v_add_f32_e32 v58, v30, v58
	v_fma_f32 v30, 0xbe8c1d8e, v67, -v31
	v_dual_mul_f32 v33, 0xbf06c442, v65 :: v_dual_add_f32 v12, v29, v12
	s_delay_alu instid0(VALU_DEP_2) | instskip(SKIP_2) | instid1(VALU_DEP_2)
	v_dual_mul_f32 v29, 0x3eb8f4ab, v65 :: v_dual_add_f32 v10, v30, v10
	v_fmamk_f32 v31, v66, 0xbf7ba420, v32
	v_fma_f32 v32, 0xbf7ba420, v66, -v32
	v_dual_fmamk_f32 v67, v66, 0x3f6eb680, v29 :: v_dual_add_f32 v8, v31, v8
	s_delay_alu instid0(VALU_DEP_2) | instskip(SKIP_1) | instid1(VALU_DEP_3)
	v_add_f32_e32 v30, v32, v11
	v_fma_f32 v11, 0x3f6eb680, v66, -v29
	v_dual_fmamk_f32 v29, v66, 0xbf59a7d5, v33 :: v_dual_add_f32 v14, v67, v14
	v_mul_f32_e32 v67, 0x3f2c7751, v65
	v_fma_f32 v32, 0xbf59a7d5, v66, -v33
	s_delay_alu instid0(VALU_DEP_4) | instskip(NEXT) | instid1(VALU_DEP_3)
	v_add_f32_e32 v31, v11, v9
	v_dual_add_f32 v9, v29, v16 :: v_dual_fmamk_f32 v16, v66, 0x3f3d2fb0, v67
	s_delay_alu instid0(VALU_DEP_3) | instskip(SKIP_1) | instid1(VALU_DEP_3)
	v_add_f32_e32 v32, v32, v13
	v_fma_f32 v13, 0x3f3d2fb0, v66, -v67
	v_dual_add_f32 v16, v16, v34 :: v_dual_mul_f32 v11, 0xbf4c4adb, v65
	v_mul_f32_e32 v29, 0x3f65296c, v65
	s_delay_alu instid0(VALU_DEP_3) | instskip(NEXT) | instid1(VALU_DEP_3)
	v_add_f32_e32 v33, v13, v15
	v_fmamk_f32 v67, v66, 0xbf1a4643, v11
	v_fma_f32 v11, 0xbf1a4643, v66, -v11
	s_delay_alu instid0(VALU_DEP_4) | instskip(SKIP_1) | instid1(VALU_DEP_4)
	v_fmamk_f32 v13, v66, 0x3ee437d1, v29
	v_fma_f32 v34, 0x3ee437d1, v66, -v29
	v_add_f32_e32 v15, v67, v68
	s_delay_alu instid0(VALU_DEP_4) | instskip(SKIP_1) | instid1(VALU_DEP_4)
	v_add_f32_e32 v29, v11, v63
	v_mul_f32_e32 v11, 0xbf763a35, v65
	v_dual_mul_f32 v63, 0x3f7ee86f, v65 :: v_dual_add_f32 v34, v34, v60
	s_delay_alu instid0(VALU_DEP_2) | instskip(SKIP_1) | instid1(VALU_DEP_3)
	v_dual_add_f32 v13, v13, v64 :: v_dual_fmamk_f32 v60, v66, 0xbe8c1d8e, v11
	v_fma_f32 v11, 0xbe8c1d8e, v66, -v11
	v_fmamk_f32 v64, v66, 0x3dbcf732, v63
	v_fma_f32 v63, 0x3dbcf732, v66, -v63
	s_delay_alu instid0(VALU_DEP_4) | instskip(NEXT) | instid1(VALU_DEP_4)
	v_dual_add_f32 v59, v60, v59 :: v_dual_add_nc_u32 v60, 0x1600, v0
	v_add_f32_e32 v11, v11, v58
	v_add3_u32 v58, 0, v5, v6
	v_add_f32_e32 v12, v64, v12
	v_add_f32_e32 v10, v63, v10
	ds_store_2addr_b32 v58, v7, v8 offset1:17
	ds_store_2addr_b32 v58, v14, v9 offset0:34 offset1:51
	ds_store_2addr_b32 v58, v16, v15 offset0:68 offset1:85
	;; [unrolled: 1-line block ×7, first 2 shown]
	ds_store_b32 v58, v30 offset:1088
	v_add_nc_u32_e32 v59, 0x1000, v0
	global_wb scope:SCOPE_SE
	s_wait_dscnt 0x0
	s_barrier_signal -1
	s_barrier_wait -1
	global_inv scope:SCOPE_SE
	ds_load_2addr_b32 v[5:6], v0 offset1:102
	ds_load_2addr_b32 v[11:12], v19 offset0:33 offset1:135
	ds_load_2addr_b32 v[7:8], v21 offset0:66 offset1:168
	;; [unrolled: 1-line block ×5, first 2 shown]
                                        ; implicit-def: $vgpr34
	s_and_saveexec_b32 s1, s0
	s_cbranch_execz .LBB0_15
; %bb.14:
	ds_load_b32 v29, v0 offset:816
	ds_load_b32 v33, v0 offset:1972
	;; [unrolled: 1-line block ×6, first 2 shown]
.LBB0_15:
	s_wait_alu 0xfffe
	s_or_b32 exec_lo, exec_lo, s1
	v_dual_add_f32 v63, v17, v57 :: v_dual_sub_f32 v56, v56, v62
	v_add_f32_e32 v62, v53, v55
	v_dual_add_f32 v57, v57, v54 :: v_dual_sub_f32 v52, v52, v61
	s_delay_alu instid0(VALU_DEP_3) | instskip(SKIP_1) | instid1(VALU_DEP_4)
	v_add_f32_e32 v53, v63, v53
	v_sub_f32_e32 v35, v35, v37
	v_mul_f32_e32 v73, 0xbf59a7d5, v62
	s_delay_alu instid0(VALU_DEP_4) | instskip(SKIP_4) | instid1(VALU_DEP_3)
	v_mul_f32_e32 v61, 0x3f6eb680, v57
	v_mul_f32_e32 v68, 0xbf59a7d5, v57
	v_dual_add_f32 v53, v53, v49 :: v_dual_mul_f32 v72, 0xbf7ba420, v62
	v_dual_mul_f32 v65, 0x3dbcf732, v57 :: v_dual_mul_f32 v70, 0x3dbcf732, v62
	v_add_f32_e32 v49, v49, v51
	v_dual_add_f32 v53, v53, v45 :: v_dual_fmamk_f32 v74, v56, 0x3eb8f4ab, v61
	v_sub_f32_e32 v25, v25, v27
	global_wb scope:SCOPE_SE
	s_wait_dscnt 0x0
	s_barrier_signal -1
	v_add_f32_e32 v53, v53, v41
	v_mul_f32_e32 v64, 0x3ee437d1, v57
	v_add_f32_e32 v74, v17, v74
	v_add_f32_e32 v41, v41, v43
	v_add_f32_e32 v45, v45, v48
	v_dual_add_f32 v53, v53, v36 :: v_dual_mul_f32 v66, 0xbe8c1d8e, v57
	v_fmamk_f32 v76, v56, 0x3f65296c, v64
	v_mul_f32_e32 v63, 0x3f3d2fb0, v57
	v_sub_f32_e32 v39, v39, v42
	s_delay_alu instid0(VALU_DEP_4) | instskip(NEXT) | instid1(VALU_DEP_4)
	v_dual_add_f32 v53, v53, v26 :: v_dual_fmac_f32 v64, 0xbf65296c, v56
	v_add_f32_e32 v76, v17, v76
	v_mul_f32_e32 v42, 0xbe8c1d8e, v41
	s_barrier_wait -1
	s_delay_alu instid0(VALU_DEP_3)
	v_dual_add_f32 v53, v53, v22 :: v_dual_fmamk_f32 v78, v56, 0x3f763a35, v66
	v_dual_mul_f32 v67, 0xbf1a4643, v57 :: v_dual_add_f32 v64, v17, v64
	global_inv scope:SCOPE_SE
	v_dual_add_f32 v53, v53, v24 :: v_dual_fmamk_f32 v80, v56, 0x3f06c442, v68
	v_dual_mul_f32 v57, 0xbf7ba420, v57 :: v_dual_add_f32 v78, v17, v78
	v_fmamk_f32 v77, v56, 0x3f7ee86f, v65
	s_delay_alu instid0(VALU_DEP_3) | instskip(SKIP_3) | instid1(VALU_DEP_4)
	v_add_f32_e32 v53, v53, v28
	v_fmac_f32_e32 v66, 0xbf763a35, v56
	v_dual_mul_f32 v69, 0x3f3d2fb0, v62 :: v_dual_add_f32 v80, v17, v80
	v_fmamk_f32 v81, v56, 0x3e3c28d5, v57
	v_add_f32_e32 v53, v53, v38
	s_delay_alu instid0(VALU_DEP_4) | instskip(SKIP_3) | instid1(VALU_DEP_4)
	v_dual_fmac_f32 v61, 0xbeb8f4ab, v56 :: v_dual_add_f32 v66, v17, v66
	v_fmac_f32_e32 v68, 0xbf06c442, v56
	v_fmamk_f32 v79, v56, 0x3f4c4adb, v67
	v_dual_fmac_f32 v67, 0xbf4c4adb, v56 :: v_dual_sub_f32 v46, v46, v50
	v_add_f32_e32 v61, v17, v61
	s_delay_alu instid0(VALU_DEP_4) | instskip(SKIP_3) | instid1(VALU_DEP_4)
	v_dual_mul_f32 v71, 0xbf1a4643, v62 :: v_dual_add_f32 v68, v17, v68
	v_add_f32_e32 v77, v17, v77
	v_fmac_f32_e32 v65, 0xbf7ee86f, v56
	v_add_f32_e32 v81, v17, v81
	v_fmamk_f32 v83, v52, 0x3f4c4adb, v71
	v_fmac_f32_e32 v71, 0xbf4c4adb, v52
	v_fmamk_f32 v75, v56, 0x3f2c7751, v63
	v_fmac_f32_e32 v63, 0xbf2c7751, v56
	v_fmac_f32_e32 v57, 0xbe3c28d5, v56
	s_delay_alu instid0(VALU_DEP_4) | instskip(NEXT) | instid1(VALU_DEP_4)
	v_dual_add_f32 v65, v17, v65 :: v_dual_add_f32 v64, v71, v64
	v_dual_fmamk_f32 v56, v52, 0x3f2c7751, v69 :: v_dual_add_f32 v75, v17, v75
	v_add_f32_e32 v53, v53, v43
	v_add_f32_e32 v79, v17, v79
	s_delay_alu instid0(VALU_DEP_3)
	v_dual_add_f32 v67, v17, v67 :: v_dual_add_f32 v56, v56, v74
	v_dual_fmamk_f32 v82, v52, 0x3f7ee86f, v70 :: v_dual_add_f32 v63, v17, v63
	v_fmac_f32_e32 v70, 0xbf7ee86f, v52
	v_add_f32_e32 v53, v53, v48
	v_add_f32_e32 v57, v17, v57
	v_fmac_f32_e32 v69, 0xbf2c7751, v52
	v_mul_f32_e32 v50, 0x3ee437d1, v49
	v_sub_f32_e32 v44, v44, v47
	v_add_f32_e32 v53, v53, v51
	v_dual_mul_f32 v47, 0x3dbcf732, v45 :: v_dual_add_f32 v36, v36, v38
	v_add_f32_e32 v26, v26, v28
	s_delay_alu instid0(VALU_DEP_3) | instskip(SKIP_3) | instid1(VALU_DEP_4)
	v_dual_add_f32 v22, v22, v24 :: v_dual_add_f32 v17, v53, v55
	v_add_f32_e32 v53, v69, v61
	v_add_f32_e32 v61, v70, v63
	v_mul_f32_e32 v69, 0xbe8c1d8e, v62
	v_dual_fmamk_f32 v70, v52, 0xbf06c442, v73 :: v_dual_add_f32 v17, v17, v54
	v_fmamk_f32 v54, v52, 0x3e3c28d5, v72
	v_dual_fmac_f32 v72, 0xbe3c28d5, v52 :: v_dual_add_f32 v55, v82, v75
	s_delay_alu instid0(VALU_DEP_3) | instskip(NEXT) | instid1(VALU_DEP_3)
	v_dual_add_f32 v70, v70, v78 :: v_dual_mul_f32 v37, 0xbf1a4643, v36
	v_add_f32_e32 v54, v54, v77
	s_delay_alu instid0(VALU_DEP_3) | instskip(SKIP_3) | instid1(VALU_DEP_3)
	v_dual_add_f32 v65, v72, v65 :: v_dual_mul_f32 v72, 0x3ee437d1, v62
	v_fmac_f32_e32 v73, 0x3f06c442, v52
	v_mul_f32_e32 v62, 0x3f6eb680, v62
	v_dual_mul_f32 v27, 0xbf59a7d5, v26 :: v_dual_sub_f32 v18, v18, v20
	v_dual_fmamk_f32 v51, v52, 0xbf65296c, v72 :: v_dual_add_f32 v66, v73, v66
	v_fmamk_f32 v71, v52, 0xbf763a35, v69
	v_fmac_f32_e32 v72, 0x3f65296c, v52
	v_mul_f32_e32 v73, 0xbe8c1d8e, v49
	s_delay_alu instid0(VALU_DEP_4) | instskip(SKIP_1) | instid1(VALU_DEP_1)
	v_add_f32_e32 v51, v51, v80
	v_fmac_f32_e32 v69, 0x3f763a35, v52
	v_dual_mul_f32 v20, 0xbf7ba420, v22 :: v_dual_add_f32 v67, v69, v67
	v_fmamk_f32 v69, v52, 0xbeb8f4ab, v62
	v_fmac_f32_e32 v62, 0x3eb8f4ab, v52
	v_add_f32_e32 v52, v72, v68
	v_mul_f32_e32 v72, 0xbf1a4643, v49
	s_delay_alu instid0(VALU_DEP_4) | instskip(NEXT) | instid1(VALU_DEP_4)
	v_dual_add_f32 v68, v69, v81 :: v_dual_fmamk_f32 v69, v46, 0x3f65296c, v50
	v_dual_add_f32 v57, v62, v57 :: v_dual_fmac_f32 v50, 0xbf65296c, v46
	v_mul_f32_e32 v62, 0xbf7ba420, v49
	s_delay_alu instid0(VALU_DEP_3) | instskip(NEXT) | instid1(VALU_DEP_3)
	v_add_f32_e32 v56, v69, v56
	v_add_f32_e32 v50, v50, v53
	s_delay_alu instid0(VALU_DEP_3) | instskip(SKIP_1) | instid1(VALU_DEP_1)
	v_fmamk_f32 v53, v46, 0xbe3c28d5, v62
	v_fmac_f32_e32 v62, 0x3e3c28d5, v46
	v_add_f32_e32 v62, v62, v64
	v_dual_add_f32 v63, v83, v76 :: v_dual_mul_f32 v64, 0x3f6eb680, v49
	s_delay_alu instid0(VALU_DEP_1) | instskip(SKIP_2) | instid1(VALU_DEP_2)
	v_add_f32_e32 v53, v53, v63
	v_fmamk_f32 v63, v46, 0xbf763a35, v73
	v_fmac_f32_e32 v73, 0x3f763a35, v46
	v_dual_add_f32 v54, v63, v54 :: v_dual_fmamk_f32 v69, v46, 0x3f4c4adb, v72
	s_delay_alu instid0(VALU_DEP_2) | instskip(SKIP_1) | instid1(VALU_DEP_3)
	v_add_f32_e32 v65, v73, v65
	v_mul_f32_e32 v73, 0x3dbcf732, v49
	v_dual_fmac_f32 v72, 0xbf4c4adb, v46 :: v_dual_add_f32 v55, v69, v55
	v_mul_f32_e32 v69, 0x3f3d2fb0, v49
	v_mul_f32_e32 v49, 0xbf59a7d5, v49
	s_delay_alu instid0(VALU_DEP_3) | instskip(SKIP_1) | instid1(VALU_DEP_4)
	v_dual_add_f32 v61, v72, v61 :: v_dual_fmamk_f32 v72, v46, 0x3eb8f4ab, v64
	v_fmac_f32_e32 v64, 0xbeb8f4ab, v46
	v_fmamk_f32 v63, v46, 0xbf2c7751, v69
	v_fmac_f32_e32 v69, 0x3f2c7751, v46
	s_delay_alu instid0(VALU_DEP_2) | instskip(NEXT) | instid1(VALU_DEP_2)
	v_dual_add_f32 v63, v63, v70 :: v_dual_fmamk_f32 v70, v46, 0x3f7ee86f, v73
	v_dual_add_f32 v66, v69, v66 :: v_dual_add_f32 v71, v71, v79
	v_dual_fmac_f32 v73, 0xbf7ee86f, v46 :: v_dual_add_f32 v64, v64, v67
	s_delay_alu instid0(VALU_DEP_3) | instskip(SKIP_4) | instid1(VALU_DEP_4)
	v_add_f32_e32 v48, v70, v51
	v_fmamk_f32 v51, v46, 0x3f06c442, v49
	v_fmac_f32_e32 v49, 0xbf06c442, v46
	v_fmamk_f32 v67, v44, 0x3f7ee86f, v47
	v_fmac_f32_e32 v47, 0xbf7ee86f, v44
	v_dual_add_f32 v69, v72, v71 :: v_dual_add_f32 v46, v51, v68
	s_delay_alu instid0(VALU_DEP_3) | instskip(NEXT) | instid1(VALU_DEP_3)
	v_dual_mul_f32 v51, 0xbf7ba420, v45 :: v_dual_add_f32 v56, v67, v56
	v_dual_add_f32 v47, v47, v50 :: v_dual_add_f32 v52, v73, v52
	s_delay_alu instid0(VALU_DEP_2) | instskip(SKIP_2) | instid1(VALU_DEP_2)
	v_dual_fmamk_f32 v68, v44, 0x3e3c28d5, v51 :: v_dual_add_f32 v49, v49, v57
	v_mul_f32_e32 v57, 0xbe8c1d8e, v45
	v_fmac_f32_e32 v51, 0xbe3c28d5, v44
	v_fmamk_f32 v50, v44, 0xbf763a35, v57
	v_fmac_f32_e32 v57, 0x3f763a35, v44
	v_add_f32_e32 v55, v68, v55
	s_delay_alu instid0(VALU_DEP_4) | instskip(NEXT) | instid1(VALU_DEP_3)
	v_add_f32_e32 v51, v51, v61
	v_dual_add_f32 v57, v57, v62 :: v_dual_mul_f32 v62, 0xbf59a7d5, v45
	v_add_f32_e32 v50, v50, v53
	v_mul_f32_e32 v53, 0x3ee437d1, v45
	s_delay_alu instid0(VALU_DEP_1) | instskip(SKIP_1) | instid1(VALU_DEP_1)
	v_fmamk_f32 v68, v44, 0x3f65296c, v53
	v_fmac_f32_e32 v53, 0xbf65296c, v44
	v_dual_add_f32 v53, v53, v66 :: v_dual_mul_f32 v66, 0xbf1a4643, v45
	s_delay_alu instid0(VALU_DEP_3) | instskip(NEXT) | instid1(VALU_DEP_2)
	v_add_f32_e32 v63, v68, v63
	v_fmamk_f32 v43, v44, 0xbf4c4adb, v66
	v_fmac_f32_e32 v66, 0x3f4c4adb, v44
	s_delay_alu instid0(VALU_DEP_2) | instskip(SKIP_2) | instid1(VALU_DEP_2)
	v_add_f32_e32 v43, v43, v48
	v_fmamk_f32 v48, v39, 0x3f763a35, v42
	v_fmac_f32_e32 v42, 0xbf763a35, v39
	v_dual_add_f32 v48, v48, v56 :: v_dual_mul_f32 v67, 0x3f6eb680, v45
	v_mul_f32_e32 v45, 0x3f3d2fb0, v45
	s_delay_alu instid0(VALU_DEP_2) | instskip(NEXT) | instid1(VALU_DEP_1)
	v_fmamk_f32 v61, v44, 0xbeb8f4ab, v67
	v_dual_fmac_f32 v67, 0x3eb8f4ab, v44 :: v_dual_add_f32 v54, v61, v54
	s_delay_alu instid0(VALU_DEP_1) | instskip(SKIP_2) | instid1(VALU_DEP_1)
	v_add_f32_e32 v61, v67, v65
	v_fmamk_f32 v65, v44, 0x3f06c442, v62
	v_fmac_f32_e32 v62, 0xbf06c442, v44
	v_add_f32_e32 v62, v62, v64
	v_fmamk_f32 v64, v44, 0xbf2c7751, v45
	v_fmac_f32_e32 v45, 0x3f2c7751, v44
	v_add_f32_e32 v44, v66, v52
	v_mul_f32_e32 v52, 0xbf59a7d5, v41
	v_add_f32_e32 v42, v42, v47
	s_delay_alu instid0(VALU_DEP_4) | instskip(SKIP_2) | instid1(VALU_DEP_2)
	v_dual_add_f32 v46, v64, v46 :: v_dual_add_f32 v45, v45, v49
	v_mul_f32_e32 v49, 0x3f3d2fb0, v41
	v_mul_f32_e32 v64, 0x3ee437d1, v41
	v_fmamk_f32 v47, v39, 0xbf2c7751, v49
	v_fmac_f32_e32 v49, 0x3f2c7751, v39
	s_delay_alu instid0(VALU_DEP_2) | instskip(NEXT) | instid1(VALU_DEP_4)
	v_add_f32_e32 v47, v47, v50
	v_fmamk_f32 v50, v39, 0x3f65296c, v64
	s_delay_alu instid0(VALU_DEP_3) | instskip(NEXT) | instid1(VALU_DEP_1)
	v_dual_fmac_f32 v64, 0xbf65296c, v39 :: v_dual_add_f32 v49, v49, v57
	v_dual_add_f32 v50, v50, v54 :: v_dual_add_f32 v57, v64, v61
	v_mul_f32_e32 v64, 0x3f6eb680, v41
	v_fmamk_f32 v56, v39, 0xbf06c442, v52
	v_fmac_f32_e32 v52, 0x3f06c442, v39
	s_delay_alu instid0(VALU_DEP_2) | instskip(NEXT) | instid1(VALU_DEP_2)
	v_add_f32_e32 v55, v56, v55
	v_dual_add_f32 v51, v52, v51 :: v_dual_mul_f32 v52, 0xbf7ba420, v41
	v_mul_f32_e32 v56, 0x3dbcf732, v41
	v_add_f32_e32 v65, v65, v69
	v_mul_f32_e32 v41, 0xbf1a4643, v41
	s_delay_alu instid0(VALU_DEP_4) | instskip(SKIP_3) | instid1(VALU_DEP_4)
	v_fmamk_f32 v54, v39, 0x3e3c28d5, v52
	v_fmac_f32_e32 v52, 0xbe3c28d5, v39
	v_fmamk_f32 v61, v39, 0xbf7ee86f, v56
	v_fmac_f32_e32 v56, 0x3f7ee86f, v39
	v_add_f32_e32 v54, v54, v63
	s_delay_alu instid0(VALU_DEP_4) | instskip(NEXT) | instid1(VALU_DEP_4)
	v_add_f32_e32 v52, v52, v53
	v_add_f32_e32 v53, v61, v65
	v_fmamk_f32 v61, v39, 0x3eb8f4ab, v64
	v_fmac_f32_e32 v64, 0xbeb8f4ab, v39
	v_add_f32_e32 v56, v56, v62
	s_delay_alu instid0(VALU_DEP_3) | instskip(NEXT) | instid1(VALU_DEP_3)
	v_dual_add_f32 v38, v61, v43 :: v_dual_fmamk_f32 v43, v39, 0x3f4c4adb, v41
	v_dual_fmac_f32 v41, 0xbf4c4adb, v39 :: v_dual_add_f32 v44, v64, v44
	s_delay_alu instid0(VALU_DEP_2) | instskip(SKIP_2) | instid1(VALU_DEP_4)
	v_add_f32_e32 v39, v43, v46
	v_fmamk_f32 v46, v35, 0x3f4c4adb, v37
	v_fmac_f32_e32 v37, 0xbf4c4adb, v35
	v_add_f32_e32 v41, v41, v45
	v_mul_f32_e32 v45, 0x3f6eb680, v36
	v_mul_f32_e32 v43, 0xbe8c1d8e, v36
	s_delay_alu instid0(VALU_DEP_4) | instskip(NEXT) | instid1(VALU_DEP_3)
	v_dual_add_f32 v46, v46, v48 :: v_dual_add_f32 v37, v37, v42
	v_fmamk_f32 v42, v35, 0x3eb8f4ab, v45
	s_delay_alu instid0(VALU_DEP_3) | instskip(SKIP_2) | instid1(VALU_DEP_4)
	v_fmamk_f32 v61, v35, 0xbf763a35, v43
	v_fmac_f32_e32 v43, 0x3f763a35, v35
	v_fmac_f32_e32 v45, 0xbeb8f4ab, v35
	v_dual_add_f32 v42, v42, v47 :: v_dual_mul_f32 v47, 0x3dbcf732, v36
	s_delay_alu instid0(VALU_DEP_4) | instskip(NEXT) | instid1(VALU_DEP_3)
	v_dual_add_f32 v48, v61, v55 :: v_dual_mul_f32 v55, 0xbf59a7d5, v36
	v_add_f32_e32 v45, v45, v49
	v_mul_f32_e32 v49, 0x3f3d2fb0, v36
	s_delay_alu instid0(VALU_DEP_4) | instskip(NEXT) | instid1(VALU_DEP_1)
	v_fmamk_f32 v61, v35, 0xbf7ee86f, v47
	v_dual_fmac_f32 v47, 0x3f7ee86f, v35 :: v_dual_add_f32 v54, v61, v54
	s_delay_alu instid0(VALU_DEP_1) | instskip(SKIP_2) | instid1(VALU_DEP_2)
	v_add_f32_e32 v47, v47, v52
	v_mul_f32_e32 v52, 0xbf7ba420, v36
	v_mul_f32_e32 v36, 0x3ee437d1, v36
	v_fmamk_f32 v28, v35, 0x3e3c28d5, v52
	v_add_f32_e32 v43, v43, v51
	v_fmamk_f32 v51, v35, 0x3f06c442, v55
	v_fmac_f32_e32 v55, 0xbf06c442, v35
	v_fmac_f32_e32 v52, 0xbe3c28d5, v35
	v_add_f32_e32 v28, v28, v38
	s_delay_alu instid0(VALU_DEP_4) | instskip(NEXT) | instid1(VALU_DEP_4)
	v_add_f32_e32 v50, v51, v50
	v_add_f32_e32 v51, v55, v57
	v_fmamk_f32 v55, v35, 0x3f2c7751, v49
	v_fmac_f32_e32 v49, 0xbf2c7751, v35
	s_delay_alu instid0(VALU_DEP_2) | instskip(SKIP_4) | instid1(VALU_DEP_4)
	v_add_f32_e32 v53, v55, v53
	v_fmamk_f32 v55, v35, 0xbf65296c, v36
	v_dual_fmac_f32 v36, 0x3f65296c, v35 :: v_dual_add_f32 v35, v52, v44
	v_mul_f32_e32 v44, 0x3ee437d1, v26
	v_mul_f32_e32 v52, 0xbf1a4643, v26
	v_dual_add_f32 v38, v55, v39 :: v_dual_fmamk_f32 v39, v25, 0x3f06c442, v27
	s_delay_alu instid0(VALU_DEP_4)
	v_add_f32_e32 v36, v36, v41
	v_fmac_f32_e32 v27, 0xbf06c442, v25
	v_mul_f32_e32 v41, 0x3dbcf732, v26
	v_add_f32_e32 v49, v49, v56
	v_dual_add_f32 v39, v39, v46 :: v_dual_fmamk_f32 v46, v25, 0xbf65296c, v44
	v_fmac_f32_e32 v44, 0x3f65296c, v25
	v_add_f32_e32 v27, v27, v37
	v_fmamk_f32 v37, v25, 0x3f7ee86f, v41
	s_delay_alu instid0(VALU_DEP_4) | instskip(NEXT) | instid1(VALU_DEP_4)
	v_dual_fmac_f32 v41, 0xbf7ee86f, v25 :: v_dual_add_f32 v46, v46, v48
	v_dual_add_f32 v43, v44, v43 :: v_dual_mul_f32 v44, 0x3f6eb680, v26
	s_delay_alu instid0(VALU_DEP_3) | instskip(SKIP_4) | instid1(VALU_DEP_4)
	v_add_f32_e32 v42, v37, v42
	v_fmamk_f32 v37, v25, 0xbf4c4adb, v52
	v_fmac_f32_e32 v52, 0x3f4c4adb, v25
	v_add_f32_e32 v41, v41, v45
	v_mul_f32_e32 v45, 0xbf7ba420, v26
	v_add_f32_e32 v48, v37, v50
	s_delay_alu instid0(VALU_DEP_4) | instskip(SKIP_3) | instid1(VALU_DEP_4)
	v_dual_fmamk_f32 v37, v25, 0x3eb8f4ab, v44 :: v_dual_add_f32 v50, v52, v51
	v_mul_f32_e32 v52, 0x3f3d2fb0, v26
	v_mul_f32_e32 v26, 0xbe8c1d8e, v26
	v_fmamk_f32 v51, v25, 0x3e3c28d5, v45
	v_dual_add_f32 v54, v37, v54 :: v_dual_fmac_f32 v45, 0xbe3c28d5, v25
	s_delay_alu instid0(VALU_DEP_4) | instskip(SKIP_2) | instid1(VALU_DEP_4)
	v_fmamk_f32 v37, v25, 0xbf2c7751, v52
	v_fmac_f32_e32 v52, 0x3f2c7751, v25
	v_fmac_f32_e32 v44, 0xbeb8f4ab, v25
	v_add_f32_e32 v45, v45, v49
	s_delay_alu instid0(VALU_DEP_4) | instskip(NEXT) | instid1(VALU_DEP_4)
	v_add_f32_e32 v24, v37, v28
	v_dual_fmamk_f32 v28, v25, 0x3f763a35, v26 :: v_dual_add_f32 v49, v52, v35
	v_fmac_f32_e32 v26, 0xbf763a35, v25
	v_dual_fmamk_f32 v35, v18, 0x3e3c28d5, v20 :: v_dual_add_f32 v44, v44, v47
	s_delay_alu instid0(VALU_DEP_3) | instskip(SKIP_4) | instid1(VALU_DEP_4)
	v_add_f32_e32 v25, v28, v38
	v_mul_f32_e32 v28, 0x3f6eb680, v22
	v_fmac_f32_e32 v20, 0xbe3c28d5, v18
	v_mul_f32_e32 v38, 0xbf59a7d5, v22
	v_add_f32_e32 v26, v26, v36
	v_fmamk_f32 v37, v18, 0xbeb8f4ab, v28
	v_dual_fmac_f32 v28, 0x3eb8f4ab, v18 :: v_dual_add_f32 v47, v51, v53
	v_add_f32_e32 v51, v35, v39
	v_dual_mul_f32 v35, 0x3f3d2fb0, v22 :: v_dual_add_f32 v36, v20, v27
	s_delay_alu instid0(VALU_DEP_4) | instskip(NEXT) | instid1(VALU_DEP_4)
	v_dual_fmamk_f32 v20, v18, 0x3f06c442, v38 :: v_dual_add_f32 v27, v37, v46
	v_dual_add_f32 v37, v28, v43 :: v_dual_mul_f32 v28, 0xbf1a4643, v22
	s_delay_alu instid0(VALU_DEP_3) | instskip(SKIP_1) | instid1(VALU_DEP_4)
	v_fmamk_f32 v39, v18, 0xbf2c7751, v35
	v_fmac_f32_e32 v38, 0xbf06c442, v18
	v_add_f32_e32 v20, v20, v42
	v_fmac_f32_e32 v35, 0x3f2c7751, v18
	s_delay_alu instid0(VALU_DEP_4) | instskip(SKIP_2) | instid1(VALU_DEP_4)
	v_dual_fmamk_f32 v42, v18, 0x3f4c4adb, v28 :: v_dual_add_f32 v43, v39, v48
	v_fmac_f32_e32 v28, 0xbf4c4adb, v18
	v_mul_f32_e32 v48, 0xbe8c1d8e, v22
	v_add_f32_e32 v39, v35, v50
	s_delay_alu instid0(VALU_DEP_3) | instskip(NEXT) | instid1(VALU_DEP_3)
	v_dual_add_f32 v42, v42, v54 :: v_dual_add_f32 v35, v28, v44
	v_fmamk_f32 v44, v18, 0x3f763a35, v48
	v_fmac_f32_e32 v48, 0xbf763a35, v18
	v_dual_add_f32 v38, v38, v41 :: v_dual_mul_f32 v41, 0x3ee437d1, v22
	v_mul_f32_e32 v22, 0x3dbcf732, v22
	s_delay_alu instid0(VALU_DEP_4) | instskip(NEXT) | instid1(VALU_DEP_3)
	v_add_f32_e32 v24, v44, v24
	v_fmamk_f32 v46, v18, 0xbf65296c, v41
	s_delay_alu instid0(VALU_DEP_1) | instskip(NEXT) | instid1(VALU_DEP_4)
	v_dual_fmac_f32 v41, 0x3f65296c, v18 :: v_dual_add_f32 v28, v46, v47
	v_fmamk_f32 v46, v18, 0xbf7ee86f, v22
	v_fmac_f32_e32 v22, 0x3f7ee86f, v18
	s_delay_alu instid0(VALU_DEP_3) | instskip(SKIP_1) | instid1(VALU_DEP_4)
	v_add_f32_e32 v18, v41, v45
	v_add_f32_e32 v41, v48, v49
	;; [unrolled: 1-line block ×3, first 2 shown]
	s_delay_alu instid0(VALU_DEP_4)
	v_add_f32_e32 v22, v22, v26
	ds_store_2addr_b32 v58, v17, v51 offset1:17
	ds_store_2addr_b32 v58, v27, v20 offset0:34 offset1:51
	ds_store_2addr_b32 v58, v43, v42 offset0:68 offset1:85
	;; [unrolled: 1-line block ×7, first 2 shown]
	ds_store_b32 v58, v36 offset:1088
	global_wb scope:SCOPE_SE
	s_wait_dscnt 0x0
	s_barrier_signal -1
	s_barrier_wait -1
	global_inv scope:SCOPE_SE
	ds_load_2addr_b32 v[17:18], v0 offset1:102
	ds_load_2addr_b32 v[19:20], v19 offset0:33 offset1:135
	ds_load_2addr_b32 v[21:22], v21 offset0:66 offset1:168
	;; [unrolled: 1-line block ×5, first 2 shown]
                                        ; implicit-def: $vgpr41
	s_and_saveexec_b32 s1, s0
	s_cbranch_execz .LBB0_17
; %bb.16:
	ds_load_b32 v35, v0 offset:816
	ds_load_b32 v39, v0 offset:1972
	;; [unrolled: 1-line block ×6, first 2 shown]
.LBB0_17:
	s_wait_alu 0xfffe
	s_or_b32 exec_lo, exec_lo, s1
	s_and_saveexec_b32 s1, vcc_lo
	s_cbranch_execz .LBB0_20
; %bb.18:
	v_add_nc_u32_e32 v42, 0x66, v40
	v_mul_u32_u24_e32 v0, 5, v40
	v_mad_co_u64_u32 v[63:64], null, s2, v3, 0
	v_mul_lo_u32 v4, s2, v4
	s_delay_alu instid0(VALU_DEP_4) | instskip(NEXT) | instid1(VALU_DEP_4)
	v_mul_u32_u24_e32 v42, 5, v42
	v_lshlrev_b32_e32 v0, 3, v0
	v_mul_hi_u32 v65, 0xe2c4a689, v40
	v_lshlrev_b64_e32 v[1:2], 3, v[1:2]
	s_delay_alu instid0(VALU_DEP_4)
	v_lshlrev_b32_e32 v42, 3, v42
	s_clause 0x5
	global_load_b128 v[43:46], v0, s[4:5] offset:2192
	global_load_b64 v[59:60], v0, s[4:5] offset:2208
	global_load_b128 v[47:50], v42, s[4:5] offset:2176
	global_load_b128 v[51:54], v42, s[4:5] offset:2192
	global_load_b64 v[61:62], v42, s[4:5] offset:2208
	global_load_b128 v[55:58], v0, s[4:5] offset:2176
	v_mul_lo_u32 v42, s3, v3
	v_dual_mov_b32 v3, 0 :: v_dual_add_nc_u32 v66, 0x66, v40
	v_lshrrev_b32_e32 v70, 8, v65
	s_delay_alu instid0(VALU_DEP_2) | instskip(SKIP_1) | instid1(VALU_DEP_4)
	v_dual_mov_b32 v71, v3 :: v_dual_add_nc_u32 v0, 0xcc, v40
	v_mov_b32_e32 v69, v3
	v_mul_hi_u32 v68, 0xe2c4a689, v66
	v_add3_u32 v64, v64, v4, v42
	v_mul_u32_u24_e32 v4, 0x121, v70
	v_mov_b32_e32 v65, v3
	v_mov_b32_e32 v67, v3
	v_cmp_gt_u32_e32 vcc_lo, 0x121, v0
	v_lshlrev_b64_e32 v[63:64], 3, v[63:64]
	v_sub_nc_u32_e32 v4, v40, v4
	v_lshrrev_b32_e32 v68, 8, v68
	s_delay_alu instid0(VALU_DEP_2) | instskip(NEXT) | instid1(VALU_DEP_2)
	v_lshlrev_b32_e32 v70, 3, v4
	v_mul_u32_u24_e32 v42, 0x121, v68
	v_add_co_u32 v63, s1, s10, v63
	s_wait_alu 0xf1fe
	v_add_co_ci_u32_e64 v64, s1, s11, v64, s1
	s_delay_alu instid0(VALU_DEP_3) | instskip(NEXT) | instid1(VALU_DEP_3)
	v_sub_nc_u32_e32 v66, v66, v42
	v_add_co_u32 v4, s1, v63, v1
	s_wait_alu 0xf1ff
	s_delay_alu instid0(VALU_DEP_3) | instskip(NEXT) | instid1(VALU_DEP_3)
	v_add_co_ci_u32_e64 v42, s1, v64, v2, s1
	v_mad_u32_u24 v2, 0x6c6, v68, v66
	s_delay_alu instid0(VALU_DEP_3) | instskip(SKIP_1) | instid1(VALU_DEP_3)
	v_add_co_u32 v72, s1, v4, v70
	s_wait_alu 0xf1ff
	v_add_co_ci_u32_e64 v73, s1, 0, v42, s1
	s_delay_alu instid0(VALU_DEP_3)
	v_add_nc_u32_e32 v64, 0x121, v2
	v_add_nc_u32_e32 v66, 0x242, v2
	;; [unrolled: 1-line block ×4, first 2 shown]
	v_lshlrev_b64_e32 v[74:75], 3, v[2:3]
	v_add_nc_u32_e32 v2, 0x5a5, v2
	s_delay_alu instid0(VALU_DEP_2) | instskip(SKIP_1) | instid1(VALU_DEP_3)
	v_add_co_u32 v74, s1, v4, v74
	s_wait_alu 0xf1ff
	v_add_co_ci_u32_e64 v75, s1, v42, v75, s1
	s_wait_loadcnt 0x4
	v_mul_f32_e32 v77, v15, v59
	v_lshlrev_b64_e32 v[63:64], 3, v[64:65]
	s_wait_loadcnt 0x2
	v_dual_mul_f32 v76, v13, v43 :: v_dual_mul_f32 v79, v10, v54
	v_mul_f32_e32 v13, v13, v44
	v_lshlrev_b64_e32 v[65:66], 3, v[66:67]
	v_mul_f32_e32 v15, v15, v60
	v_lshlrev_b64_e32 v[67:68], 3, v[68:69]
	v_dual_mul_f32 v78, v8, v50 :: v_dual_mul_f32 v81, v14, v51
	v_lshlrev_b64_e32 v[69:70], 3, v[70:71]
	v_mul_f32_e32 v71, v9, v46
	s_wait_dscnt 0x0
	v_dual_mul_f32 v46, v27, v46 :: v_dual_fmac_f32 v77, v25, v60
	v_dual_mul_f32 v50, v22, v50 :: v_dual_fmac_f32 v81, v24, v52
	v_fma_f32 v13, v23, v43, -v13
	v_fma_f32 v15, v25, v59, -v15
	s_wait_loadcnt 0x1
	v_mul_f32_e32 v82, v16, v61
	v_fmac_f32_e32 v50, v8, v49
	s_wait_loadcnt 0x0
	v_dual_fmac_f32 v46, v9, v45 :: v_dual_mul_f32 v9, v11, v55
	v_dual_mul_f32 v11, v11, v56 :: v_dual_mul_f32 v54, v28, v54
	v_dual_mul_f32 v80, v12, v47 :: v_dual_mul_f32 v83, v7, v58
	s_delay_alu instid0(VALU_DEP_3) | instskip(NEXT) | instid1(VALU_DEP_3)
	v_fmac_f32_e32 v9, v19, v56
	v_fma_f32 v11, v19, v55, -v11
	v_dual_add_f32 v19, v13, v15 :: v_dual_fmac_f32 v82, v26, v62
	v_fma_f32 v27, v27, v45, -v71
	v_mul_f32_e32 v58, v21, v58
	v_fma_f32 v22, v22, v49, -v78
	s_delay_alu instid0(VALU_DEP_4)
	v_fma_f32 v19, -0.5, v19, v11
	v_add_f32_e32 v11, v11, v13
	v_dual_fmac_f32 v76, v23, v44 :: v_dual_sub_f32 v43, v81, v82
	v_mul_f32_e32 v14, v14, v52
	v_fma_f32 v23, v28, v53, -v79
	v_mul_f32_e32 v16, v16, v62
	v_fmac_f32_e32 v58, v7, v57
	v_add_f32_e32 v7, v76, v77
	v_fma_f32 v8, v24, v51, -v14
	v_fma_f32 v14, v21, v57, -v83
	v_dual_mul_f32 v12, v12, v48 :: v_dual_add_f32 v25, v81, v82
	v_fmac_f32_e32 v54, v10, v53
	v_add_f32_e32 v21, v22, v23
	v_fma_f32 v10, v26, v61, -v16
	v_fma_f32 v51, -0.5, v7, v9
	v_add_f32_e32 v9, v9, v76
	v_dual_add_f32 v7, v17, v14 :: v_dual_fmac_f32 v80, v20, v48
	v_fma_f32 v12, v20, v47, -v12
	v_add_f32_e32 v47, v6, v50
	v_dual_add_f32 v28, v8, v10 :: v_dual_add_f32 v11, v11, v15
	v_add_f32_e32 v44, v18, v22
	v_add_f32_e32 v45, v50, v54
	;; [unrolled: 1-line block ×3, first 2 shown]
	v_fma_f32 v53, -0.5, v21, v18
	v_add_f32_e32 v48, v80, v81
	v_sub_f32_e32 v26, v8, v10
	v_sub_f32_e32 v22, v22, v23
	v_fma_f32 v21, -0.5, v28, v12
	v_add_f32_e32 v8, v12, v8
	v_fma_f32 v17, -0.5, v49, v17
	v_add_f32_e32 v12, v44, v23
	v_fma_f32 v44, -0.5, v45, v6
	v_dual_add_f32 v23, v48, v82 :: v_dual_sub_f32 v16, v13, v15
	v_dual_add_f32 v13, v58, v46 :: v_dual_sub_f32 v20, v76, v77
	v_add_f32_e32 v52, v5, v58
	v_sub_f32_e32 v24, v50, v54
	v_fma_f32 v18, -0.5, v25, v80
	v_dual_fmamk_f32 v25, v16, 0x3f5db3d7, v51 :: v_dual_sub_f32 v50, v58, v46
	v_fmac_f32_e32 v51, 0xbf5db3d7, v16
	s_delay_alu instid0(VALU_DEP_4)
	v_fmamk_f32 v45, v24, 0xbf5db3d7, v53
	v_fmamk_f32 v28, v20, 0xbf5db3d7, v19
	v_dual_sub_f32 v14, v14, v27 :: v_dual_fmac_f32 v19, 0x3f5db3d7, v20
	v_add_f32_e32 v16, v7, v27
	v_fma_f32 v27, -0.5, v13, v5
	v_add_f32_e32 v13, v52, v46
	v_dual_add_f32 v15, v9, v77 :: v_dual_fmamk_f32 v46, v43, 0xbf5db3d7, v21
	v_dual_fmac_f32 v21, 0x3f5db3d7, v43 :: v_dual_add_f32 v8, v8, v10
	v_add_f32_e32 v10, v47, v54
	s_delay_alu instid0(VALU_DEP_3) | instskip(SKIP_1) | instid1(VALU_DEP_4)
	v_dual_fmamk_f32 v20, v26, 0x3f5db3d7, v18 :: v_dual_sub_f32 v9, v13, v15
	v_fmac_f32_e32 v53, 0x3f5db3d7, v24
	v_dual_fmac_f32 v18, 0xbf5db3d7, v26 :: v_dual_mul_f32 v49, 0xbf5db3d7, v21
	v_mul_f32_e32 v24, 0.5, v19
	v_mul_f32_e32 v19, 0xbf5db3d7, v19
	v_fmamk_f32 v43, v22, 0x3f5db3d7, v44
	v_dual_fmac_f32 v44, 0xbf5db3d7, v22 :: v_dual_sub_f32 v5, v10, v23
	v_add_f32_e32 v7, v10, v23
	s_delay_alu instid0(VALU_DEP_4) | instskip(SKIP_4) | instid1(VALU_DEP_4)
	v_fmac_f32_e32 v19, 0.5, v51
	v_dual_mul_f32 v23, -0.5, v28 :: v_dual_fmamk_f32 v26, v14, 0x3f5db3d7, v27
	v_fmac_f32_e32 v27, 0xbf5db3d7, v14
	v_fmamk_f32 v22, v50, 0xbf5db3d7, v17
	v_dual_fmac_f32 v17, 0x3f5db3d7, v50 :: v_dual_sub_f32 v6, v12, v8
	v_dual_add_f32 v8, v12, v8 :: v_dual_fmac_f32 v23, 0x3f5db3d7, v25
	v_dual_sub_f32 v10, v16, v11 :: v_dual_fmac_f32 v49, 0.5, v18
	v_add_f32_e32 v12, v16, v11
	v_add_f32_e32 v11, v13, v15
	v_mul_f32_e32 v47, -0.5, v46
	v_mul_f32_e32 v46, 0xbf5db3d7, v46
	v_add_co_u32 v63, s1, v4, v63
	s_wait_alu 0xf1ff
	v_add_co_ci_u32_e64 v64, s1, v42, v64, s1
	s_delay_alu instid0(VALU_DEP_3)
	v_fmac_f32_e32 v46, -0.5, v20
	v_mul_f32_e32 v28, 0xbf5db3d7, v28
	v_add_co_u32 v65, s1, v4, v65
	v_dual_fmac_f32 v47, 0x3f5db3d7, v20 :: v_dual_fmac_f32 v24, 0x3f5db3d7, v51
	v_sub_f32_e32 v15, v27, v19
	v_dual_add_f32 v19, v27, v19 :: v_dual_mul_f32 v48, 0.5, v21
	v_dual_sub_f32 v21, v43, v46 :: v_dual_fmac_f32 v28, -0.5, v25
	s_wait_alu 0xf1ff
	v_add_co_ci_u32_e64 v66, s1, v42, v66, s1
	v_lshlrev_b64_e32 v[1:2], 3, v[2:3]
	v_add_co_u32 v67, s1, v4, v67
	s_wait_alu 0xf1ff
	v_add_co_ci_u32_e64 v68, s1, v42, v68, s1
	v_add_co_u32 v69, s1, v4, v69
	v_dual_add_f32 v25, v43, v46 :: v_dual_sub_f32 v16, v17, v24
	v_add_f32_e32 v20, v17, v24
	v_dual_add_f32 v17, v26, v28 :: v_dual_fmac_f32 v48, 0x3f5db3d7, v18
	v_add_f32_e32 v27, v44, v49
	s_wait_alu 0xf1ff
	v_add_co_ci_u32_e64 v70, s1, v42, v70, s1
	v_add_f32_e32 v18, v22, v23
	v_add_co_u32 v1, s1, v4, v1
	s_wait_alu 0xf1ff
	v_add_co_ci_u32_e64 v2, s1, v42, v2, s1
	v_sub_f32_e32 v14, v22, v23
	v_dual_sub_f32 v13, v26, v28 :: v_dual_sub_f32 v22, v45, v47
	v_dual_sub_f32 v24, v53, v48 :: v_dual_sub_f32 v23, v44, v49
	v_add_f32_e32 v26, v45, v47
	v_add_f32_e32 v28, v53, v48
	s_clause 0xb
	global_store_b64 v[72:73], v[11:12], off
	global_store_b64 v[72:73], v[19:20], off offset:2312
	global_store_b64 v[72:73], v[17:18], off offset:4624
	;; [unrolled: 1-line block ×5, first 2 shown]
	global_store_b64 v[74:75], v[7:8], off
	global_store_b64 v[63:64], v[27:28], off
	;; [unrolled: 1-line block ×6, first 2 shown]
	s_and_b32 exec_lo, exec_lo, vcc_lo
	s_cbranch_execz .LBB0_20
; %bb.19:
	v_mov_b32_e32 v1, 0xcc
	s_delay_alu instid0(VALU_DEP_1) | instskip(NEXT) | instid1(VALU_DEP_1)
	v_cndmask_b32_e64 v1, 0xffffffab, v1, s0
	v_add_nc_u32_e32 v1, v40, v1
	s_delay_alu instid0(VALU_DEP_1) | instskip(NEXT) | instid1(VALU_DEP_1)
	v_mul_i32_i24_e32 v2, 5, v1
	v_lshlrev_b64_e32 v[1:2], 3, v[2:3]
	s_delay_alu instid0(VALU_DEP_1) | instskip(SKIP_1) | instid1(VALU_DEP_2)
	v_add_co_u32 v1, vcc_lo, s4, v1
	s_wait_alu 0xfffd
	v_add_co_ci_u32_e32 v2, vcc_lo, s5, v2, vcc_lo
	s_clause 0x2
	global_load_b128 v[5:8], v[1:2], off offset:2176
	global_load_b128 v[9:12], v[1:2], off offset:2192
	global_load_b64 v[13:14], v[1:2], off offset:2208
	v_dual_mov_b32 v1, v3 :: v_dual_add_nc_u32 v2, 0x1ed, v40
	s_delay_alu instid0(VALU_DEP_1) | instskip(NEXT) | instid1(VALU_DEP_2)
	v_lshlrev_b64_e32 v[0:1], 3, v[0:1]
	v_lshlrev_b64_e32 v[15:16], 3, v[2:3]
	v_add_nc_u32_e32 v2, 0x30e, v40
	s_delay_alu instid0(VALU_DEP_3) | instskip(SKIP_1) | instid1(VALU_DEP_4)
	v_add_co_u32 v0, vcc_lo, v4, v0
	s_wait_alu 0xfffd
	v_add_co_ci_u32_e32 v1, vcc_lo, v42, v1, vcc_lo
	s_delay_alu instid0(VALU_DEP_4)
	v_add_co_u32 v15, vcc_lo, v4, v15
	s_wait_alu 0xfffd
	v_add_co_ci_u32_e32 v16, vcc_lo, v42, v16, vcc_lo
	s_wait_loadcnt 0x2
	v_mul_f32_e32 v23, v39, v6
	v_lshlrev_b64_e32 v[17:18], 3, v[2:3]
	v_add_nc_u32_e32 v2, 0x42f, v40
	s_wait_loadcnt 0x1
	v_dual_mul_f32 v24, v37, v10 :: v_dual_mul_f32 v25, v36, v12
	v_dual_fmac_f32 v23, v33, v5 :: v_dual_mul_f32 v10, v31, v10
	s_delay_alu instid0(VALU_DEP_3) | instskip(NEXT) | instid1(VALU_DEP_3)
	v_lshlrev_b64_e32 v[19:20], 3, v[2:3]
	v_dual_fmac_f32 v25, v30, v11 :: v_dual_add_nc_u32 v2, 0x550, v40
	v_add_co_u32 v17, vcc_lo, v4, v17
	s_wait_alu 0xfffd
	v_add_co_ci_u32_e32 v18, vcc_lo, v42, v18, vcc_lo
	s_delay_alu instid0(VALU_DEP_3) | instskip(SKIP_4) | instid1(VALU_DEP_3)
	v_lshlrev_b64_e32 v[21:22], 3, v[2:3]
	v_add_nc_u32_e32 v2, 0x671, v40
	v_add_co_u32 v19, vcc_lo, v4, v19
	s_wait_alu 0xfffd
	v_add_co_ci_u32_e32 v20, vcc_lo, v42, v20, vcc_lo
	v_lshlrev_b64_e32 v[2:3], 3, v[2:3]
	v_add_co_u32 v21, vcc_lo, v4, v21
	s_wait_alu 0xfffd
	v_add_co_ci_u32_e32 v22, vcc_lo, v42, v22, vcc_lo
	v_fmac_f32_e32 v24, v31, v9
	s_delay_alu instid0(VALU_DEP_4) | instskip(SKIP_4) | instid1(VALU_DEP_3)
	v_add_co_u32 v2, vcc_lo, v4, v2
	v_mul_f32_e32 v4, v33, v6
	v_mul_f32_e32 v6, v38, v8
	s_wait_alu 0xfffd
	v_add_co_ci_u32_e32 v3, vcc_lo, v42, v3, vcc_lo
	v_fma_f32 v27, v39, v5, -v4
	s_delay_alu instid0(VALU_DEP_3) | instskip(SKIP_1) | instid1(VALU_DEP_2)
	v_fmac_f32_e32 v6, v32, v7
	v_fma_f32 v5, v37, v9, -v10
	v_dual_add_f32 v9, v29, v6 :: v_dual_mul_f32 v8, v32, v8
	v_add_f32_e32 v10, v6, v25
	s_delay_alu instid0(VALU_DEP_2) | instskip(NEXT) | instid1(VALU_DEP_3)
	v_dual_mul_f32 v12, v30, v12 :: v_dual_add_f32 v9, v9, v25
	v_fma_f32 v4, v38, v7, -v8
	s_delay_alu instid0(VALU_DEP_3) | instskip(NEXT) | instid1(VALU_DEP_3)
	v_fmac_f32_e32 v29, -0.5, v10
	v_fma_f32 v7, v36, v11, -v12
	s_delay_alu instid0(VALU_DEP_1) | instskip(SKIP_2) | instid1(VALU_DEP_2)
	v_dual_add_f32 v12, v35, v4 :: v_dual_sub_f32 v11, v4, v7
	v_add_f32_e32 v4, v4, v7
	s_wait_loadcnt 0x0
	v_dual_add_f32 v7, v12, v7 :: v_dual_mul_f32 v26, v41, v14
	s_delay_alu instid0(VALU_DEP_2) | instskip(SKIP_1) | instid1(VALU_DEP_3)
	v_dual_mul_f32 v14, v34, v14 :: v_dual_fmac_f32 v35, -0.5, v4
	v_fmamk_f32 v12, v11, 0xbf5db3d7, v29
	v_dual_fmac_f32 v29, 0x3f5db3d7, v11 :: v_dual_fmac_f32 v26, v34, v13
	s_delay_alu instid0(VALU_DEP_3) | instskip(SKIP_1) | instid1(VALU_DEP_2)
	v_fma_f32 v8, v41, v13, -v14
	v_add_f32_e32 v13, v23, v24
	v_sub_f32_e32 v28, v5, v8
	v_dual_add_f32 v30, v27, v5 :: v_dual_add_f32 v5, v5, v8
	s_delay_alu instid0(VALU_DEP_1) | instskip(NEXT) | instid1(VALU_DEP_1)
	v_dual_fmac_f32 v27, -0.5, v5 :: v_dual_add_f32 v14, v24, v26
	v_dual_fmac_f32 v23, -0.5, v14 :: v_dual_sub_f32 v6, v6, v25
	s_delay_alu instid0(VALU_DEP_1) | instskip(NEXT) | instid1(VALU_DEP_2)
	v_dual_fmamk_f32 v11, v28, 0xbf5db3d7, v23 :: v_dual_add_f32 v10, v13, v26
	v_fmamk_f32 v13, v6, 0x3f5db3d7, v35
	v_fmac_f32_e32 v35, 0xbf5db3d7, v6
	v_fmac_f32_e32 v23, 0x3f5db3d7, v28
	v_add_f32_e32 v8, v30, v8
	s_delay_alu instid0(VALU_DEP_1) | instskip(NEXT) | instid1(VALU_DEP_1)
	v_dual_sub_f32 v24, v24, v26 :: v_dual_add_f32 v5, v7, v8
	v_fmamk_f32 v6, v24, 0x3f5db3d7, v27
	v_fmac_f32_e32 v27, 0xbf5db3d7, v24
	s_delay_alu instid0(VALU_DEP_2) | instskip(SKIP_1) | instid1(VALU_DEP_2)
	v_mul_f32_e32 v25, 0.5, v6
	v_sub_f32_e32 v7, v7, v8
	v_fmac_f32_e32 v25, 0x3f5db3d7, v11
	s_delay_alu instid0(VALU_DEP_4) | instskip(SKIP_1) | instid1(VALU_DEP_2)
	v_mul_f32_e32 v26, -0.5, v27
	v_add_f32_e32 v4, v9, v10
	v_fmac_f32_e32 v26, 0x3f5db3d7, v23
	v_mul_f32_e32 v24, 0xbf5db3d7, v27
	s_delay_alu instid0(VALU_DEP_1) | instskip(SKIP_4) | instid1(VALU_DEP_4)
	v_fmac_f32_e32 v24, -0.5, v23
	v_mul_f32_e32 v14, 0xbf5db3d7, v6
	v_sub_f32_e32 v6, v9, v10
	v_add_f32_e32 v9, v13, v25
	v_sub_f32_e32 v13, v13, v25
	v_dual_sub_f32 v23, v29, v24 :: v_dual_fmac_f32 v14, 0.5, v11
	v_dual_add_f32 v10, v29, v24 :: v_dual_add_f32 v11, v35, v26
	v_sub_f32_e32 v24, v35, v26
	s_delay_alu instid0(VALU_DEP_3)
	v_add_f32_e32 v8, v12, v14
	v_sub_f32_e32 v12, v12, v14
	s_clause 0x5
	global_store_b64 v[0:1], v[4:5], off
	global_store_b64 v[15:16], v[8:9], off
	;; [unrolled: 1-line block ×6, first 2 shown]
.LBB0_20:
	s_nop 0
	s_sendmsg sendmsg(MSG_DEALLOC_VGPRS)
	s_endpgm
	.section	.rodata,"a",@progbits
	.p2align	6, 0x0
	.amdhsa_kernel fft_rtc_back_len1734_factors_17_17_6_wgs_102_tpt_102_halfLds_sp_op_CI_CI_unitstride_sbrr_dirReg
		.amdhsa_group_segment_fixed_size 0
		.amdhsa_private_segment_fixed_size 0
		.amdhsa_kernarg_size 104
		.amdhsa_user_sgpr_count 2
		.amdhsa_user_sgpr_dispatch_ptr 0
		.amdhsa_user_sgpr_queue_ptr 0
		.amdhsa_user_sgpr_kernarg_segment_ptr 1
		.amdhsa_user_sgpr_dispatch_id 0
		.amdhsa_user_sgpr_private_segment_size 0
		.amdhsa_wavefront_size32 1
		.amdhsa_uses_dynamic_stack 0
		.amdhsa_enable_private_segment 0
		.amdhsa_system_sgpr_workgroup_id_x 1
		.amdhsa_system_sgpr_workgroup_id_y 0
		.amdhsa_system_sgpr_workgroup_id_z 0
		.amdhsa_system_sgpr_workgroup_info 0
		.amdhsa_system_vgpr_workitem_id 0
		.amdhsa_next_free_vgpr 88
		.amdhsa_next_free_sgpr 39
		.amdhsa_reserve_vcc 1
		.amdhsa_float_round_mode_32 0
		.amdhsa_float_round_mode_16_64 0
		.amdhsa_float_denorm_mode_32 3
		.amdhsa_float_denorm_mode_16_64 3
		.amdhsa_fp16_overflow 0
		.amdhsa_workgroup_processor_mode 1
		.amdhsa_memory_ordered 1
		.amdhsa_forward_progress 0
		.amdhsa_round_robin_scheduling 0
		.amdhsa_exception_fp_ieee_invalid_op 0
		.amdhsa_exception_fp_denorm_src 0
		.amdhsa_exception_fp_ieee_div_zero 0
		.amdhsa_exception_fp_ieee_overflow 0
		.amdhsa_exception_fp_ieee_underflow 0
		.amdhsa_exception_fp_ieee_inexact 0
		.amdhsa_exception_int_div_zero 0
	.end_amdhsa_kernel
	.text
.Lfunc_end0:
	.size	fft_rtc_back_len1734_factors_17_17_6_wgs_102_tpt_102_halfLds_sp_op_CI_CI_unitstride_sbrr_dirReg, .Lfunc_end0-fft_rtc_back_len1734_factors_17_17_6_wgs_102_tpt_102_halfLds_sp_op_CI_CI_unitstride_sbrr_dirReg
                                        ; -- End function
	.section	.AMDGPU.csdata,"",@progbits
; Kernel info:
; codeLenInByte = 15912
; NumSgprs: 41
; NumVgprs: 88
; ScratchSize: 0
; MemoryBound: 0
; FloatMode: 240
; IeeeMode: 1
; LDSByteSize: 0 bytes/workgroup (compile time only)
; SGPRBlocks: 5
; VGPRBlocks: 10
; NumSGPRsForWavesPerEU: 41
; NumVGPRsForWavesPerEU: 88
; Occupancy: 16
; WaveLimiterHint : 1
; COMPUTE_PGM_RSRC2:SCRATCH_EN: 0
; COMPUTE_PGM_RSRC2:USER_SGPR: 2
; COMPUTE_PGM_RSRC2:TRAP_HANDLER: 0
; COMPUTE_PGM_RSRC2:TGID_X_EN: 1
; COMPUTE_PGM_RSRC2:TGID_Y_EN: 0
; COMPUTE_PGM_RSRC2:TGID_Z_EN: 0
; COMPUTE_PGM_RSRC2:TIDIG_COMP_CNT: 0
	.text
	.p2alignl 7, 3214868480
	.fill 96, 4, 3214868480
	.type	__hip_cuid_5bb30950ac6449e2,@object ; @__hip_cuid_5bb30950ac6449e2
	.section	.bss,"aw",@nobits
	.globl	__hip_cuid_5bb30950ac6449e2
__hip_cuid_5bb30950ac6449e2:
	.byte	0                               ; 0x0
	.size	__hip_cuid_5bb30950ac6449e2, 1

	.ident	"AMD clang version 19.0.0git (https://github.com/RadeonOpenCompute/llvm-project roc-6.4.0 25133 c7fe45cf4b819c5991fe208aaa96edf142730f1d)"
	.section	".note.GNU-stack","",@progbits
	.addrsig
	.addrsig_sym __hip_cuid_5bb30950ac6449e2
	.amdgpu_metadata
---
amdhsa.kernels:
  - .args:
      - .actual_access:  read_only
        .address_space:  global
        .offset:         0
        .size:           8
        .value_kind:     global_buffer
      - .offset:         8
        .size:           8
        .value_kind:     by_value
      - .actual_access:  read_only
        .address_space:  global
        .offset:         16
        .size:           8
        .value_kind:     global_buffer
      - .actual_access:  read_only
        .address_space:  global
        .offset:         24
        .size:           8
        .value_kind:     global_buffer
      - .actual_access:  read_only
        .address_space:  global
        .offset:         32
        .size:           8
        .value_kind:     global_buffer
      - .offset:         40
        .size:           8
        .value_kind:     by_value
      - .actual_access:  read_only
        .address_space:  global
        .offset:         48
        .size:           8
        .value_kind:     global_buffer
      - .actual_access:  read_only
        .address_space:  global
        .offset:         56
        .size:           8
        .value_kind:     global_buffer
      - .offset:         64
        .size:           4
        .value_kind:     by_value
      - .actual_access:  read_only
        .address_space:  global
        .offset:         72
        .size:           8
        .value_kind:     global_buffer
      - .actual_access:  read_only
        .address_space:  global
        .offset:         80
        .size:           8
        .value_kind:     global_buffer
      - .actual_access:  read_only
        .address_space:  global
        .offset:         88
        .size:           8
        .value_kind:     global_buffer
      - .actual_access:  write_only
        .address_space:  global
        .offset:         96
        .size:           8
        .value_kind:     global_buffer
    .group_segment_fixed_size: 0
    .kernarg_segment_align: 8
    .kernarg_segment_size: 104
    .language:       OpenCL C
    .language_version:
      - 2
      - 0
    .max_flat_workgroup_size: 102
    .name:           fft_rtc_back_len1734_factors_17_17_6_wgs_102_tpt_102_halfLds_sp_op_CI_CI_unitstride_sbrr_dirReg
    .private_segment_fixed_size: 0
    .sgpr_count:     41
    .sgpr_spill_count: 0
    .symbol:         fft_rtc_back_len1734_factors_17_17_6_wgs_102_tpt_102_halfLds_sp_op_CI_CI_unitstride_sbrr_dirReg.kd
    .uniform_work_group_size: 1
    .uses_dynamic_stack: false
    .vgpr_count:     88
    .vgpr_spill_count: 0
    .wavefront_size: 32
    .workgroup_processor_mode: 1
amdhsa.target:   amdgcn-amd-amdhsa--gfx1201
amdhsa.version:
  - 1
  - 2
...

	.end_amdgpu_metadata
